;; amdgpu-corpus repo=ROCm/aiter kind=harvested arch=n/a opt=n/a

/root/src/amdgpu-assembly/repos/ROCm__aiter/hsa/gfx950/fmha_v3_bwd/bwd_hd192_fp16_causal_br_a32_psskddv_group.co:	file format elf64-amdgpu

Disassembly of section .text:

0000000000004000 <_ZN5aiter57fmha_bwd_hd192_fp16_causal_br_a32_psskddv_group_recompileE>:
	s_and_b32 s1, s1, 0xffff                                   // 000000004000: 8601FF01 0000FFFF
	s_load_dwordx2 s[32:33], s[0:1], 0x0                       // 000000004008: C0060800 00000000
	s_load_dwordx2 s[36:37], s[0:1], 0x10                      // 000000004010: C0060900 00000010
	s_load_dwordx2 s[40:41], s[0:1], 0x20                      // 000000004018: C0060A00 00000020
	s_load_dwordx2 s[8:9], s[0:1], 0x30                        // 000000004020: C0060200 00000030
	s_load_dwordx2 s[12:13], s[0:1], 0x40                      // 000000004028: C0060300 00000040
	s_load_dwordx2 s[16:17], s[0:1], 0x50                      // 000000004030: C0060400 00000050
	s_load_dwordx2 s[20:21], s[0:1], 0x60                      // 000000004038: C0060500 00000060
	s_load_dwordx2 s[24:25], s[0:1], 0x70                      // 000000004040: C0060600 00000070
	s_load_dwordx2 s[28:29], s[0:1], 0x80                      // 000000004048: C0060700 00000080
	s_load_dword s47, s[0:1], 0x90                             // 000000004050: C0020BC0 00000090
	s_load_dword s48, s[0:1], 0xa0                             // 000000004058: C0020C00 000000A0
	s_load_dword s78, s[0:1], 0xd0                             // 000000004060: C0021380 000000D0
	s_load_dword s5, s[0:1], 0xf0                              // 000000004068: C0020140 000000F0
	s_load_dword s44, s[0:1], 0x100                            // 000000004070: C0020B00 00000100
	s_load_dword s79, s[0:1], 0x110                            // 000000004078: C00213C0 00000110
	s_load_dword s6, s[0:1], 0x130                             // 000000004080: C0020180 00000130
	s_load_dword s52, s[0:1], 0x140                            // 000000004088: C0020D00 00000140
	s_load_dword s50, s[0:1], 0x160                            // 000000004090: C0020C80 00000160
	s_load_dword s80, s[0:1], 0x190                            // 000000004098: C0021400 00000190
	s_load_dword s7, s[0:1], 0x1b0                             // 0000000040A0: C00201C0 000001B0
	s_load_dword s81, s[0:1], 0x1c0                            // 0000000040A8: C0021440 000001C0
	s_load_dword s51, s[0:1], 0x1e0                            // 0000000040B0: C0020CC0 000001E0
	s_load_dword s82, s[0:1], 0x1f0                            // 0000000040B8: C0021480 000001F0
	s_load_dword s83, s[0:1], 0x210                            // 0000000040C0: C00214C0 00000210
	s_load_dword s53, s[0:1], 0x230                            // 0000000040C8: C0020D40 00000230
	s_load_dword s49, s[0:1], 0x240                            // 0000000040D0: C0020C40 00000240
	s_load_dwordx2 s[88:89], s[0:1], 0x250                     // 0000000040D8: C0061600 00000250
	s_load_dwordx2 s[92:93], s[0:1], 0x260                     // 0000000040E0: C0061700 00000260
	s_load_dwordx2 s[96:97], s[0:1], 0x270                     // 0000000040E8: C0061800 00000270
	s_load_dwordx2 s[100:101], s[0:1], 0x280                   // 0000000040F0: C0061900 00000280
	v_lshrrev_b32_e32 v1, 10, v0                               // 0000000040F8: 2002008A
	v_lshrrev_b32_e32 v2, 10, v1                               // 0000000040FC: 2004028A
	v_and_b32_e32 v2, 0x3ff, v2                                // 000000004100: 260404FF 000003FF
	v_and_b32_e32 v1, 0x3ff, v1                                // 000000004108: 260202FF 000003FF
	v_and_b32_e32 v0, 0x3ff, v0                                // 000000004110: 260000FF 000003FF
	v_lshrrev_b32_e32 v3, 6, v0                                // 000000004118: 20060086
	v_and_b32_e32 v0, 63, v0                                   // 00000000411C: 260000BF
	s_mov_b32 s2, s2                                           // 000000004120: BE820002
	s_mov_b32 s3, s3                                           // 000000004124: BE830003
	s_mov_b32 s4, s4                                           // 000000004128: BE840004
	v_readfirstlane_b32 s46, v3                                // 00000000412C: 7E5C0503
	s_waitcnt lgkmcnt(0)                                       // 000000004130: BF8CC07F
	s_mul_i32 s60, s4, 4                                       // 000000004134: 923C8404
	s_add_u32 s88, s60, s88                                    // 000000004138: 8058583C
	s_addc_u32 s89, 0, s89                                     // 00000000413C: 82595980
	s_load_dwordx2 s[84:85], s[88:89], 0x0                     // 000000004140: C006152C 00000000
	s_add_u32 s96, s60, s96                                    // 000000004148: 8060603C
	s_addc_u32 s97, 0, s97                                     // 00000000414C: 82616180
	s_load_dword s90, s[96:97], 0x0                            // 000000004150: C00216B0 00000000
	s_add_u32 s92, s60, s92                                    // 000000004158: 805C5C3C
	s_addc_u32 s93, 0, s93                                     // 00000000415C: 825D5D80
	s_load_dwordx2 s[86:87], s[92:93], 0x0                     // 000000004160: C00615AE 00000000
	s_add_u32 s100, s60, s100                                  // 000000004168: 8064643C
	s_addc_u32 s101, 0, s101                                   // 00000000416C: 82656580
	s_load_dword s91, s[100:101], 0x0                          // 000000004170: C00216F2 00000000
	s_mov_b32 s11, 0x20000                                     // 000000004178: BE8B00FF 00020000
	s_mov_b32 s15, 0x20000                                     // 000000004180: BE8F00FF 00020000
	s_mov_b32 s19, 0x20000                                     // 000000004188: BE9300FF 00020000
	s_mov_b32 s23, 0x20000                                     // 000000004190: BE9700FF 00020000
	s_mov_b32 s27, 0x20000                                     // 000000004198: BE9B00FF 00020000
	s_mov_b32 s31, 0x20000                                     // 0000000041A0: BE9F00FF 00020000
	s_mov_b32 s35, 0x20000                                     // 0000000041A8: BEA300FF 00020000
	s_mov_b32 s39, 0x20000                                     // 0000000041B0: BEA700FF 00020000
	s_mov_b32 s43, 0x20000                                     // 0000000041B8: BEAB00FF 00020000
	s_and_b32 s9, s9, 0xffff                                   // 0000000041C0: 8609FF09 0000FFFF
	s_and_b32 s13, s13, 0xffff                                 // 0000000041C8: 860DFF0D 0000FFFF
	s_and_b32 s17, s17, 0xffff                                 // 0000000041D0: 8611FF11 0000FFFF
	s_and_b32 s21, s21, 0xffff                                 // 0000000041D8: 8615FF15 0000FFFF
	s_and_b32 s25, s25, 0xffff                                 // 0000000041E0: 8619FF19 0000FFFF
	s_and_b32 s29, s29, 0xffff                                 // 0000000041E8: 861DFF1D 0000FFFF
	s_and_b32 s33, s33, 0xffff                                 // 0000000041F0: 8621FF21 0000FFFF
	s_and_b32 s37, s37, 0xffff                                 // 0000000041F8: 8625FF25 0000FFFF
	s_and_b32 s41, s41, 0xffff                                 // 000000004200: 8629FF29 0000FFFF
	s_or_b32 s9, s9, 0x40000                                   // 000000004208: 8709FF09 00040000
	s_or_b32 s13, s13, 0x40000                                 // 000000004210: 870DFF0D 00040000
	s_or_b32 s17, s17, 0x40000                                 // 000000004218: 8711FF11 00040000
	s_or_b32 s21, s21, 0x40000                                 // 000000004220: 8715FF15 00040000
	s_or_b32 s25, s25, 0x40000                                 // 000000004228: 8719FF19 00040000
	s_or_b32 s29, s29, 0x40000                                 // 000000004230: 871DFF1D 00040000
	s_or_b32 s33, s33, 0x40000                                 // 000000004238: 8721FF21 00040000
	s_or_b32 s37, s37, 0x40000                                 // 000000004240: 8725FF25 00040000
	s_or_b32 s41, s41, 0x40000                                 // 000000004248: 8729FF29 00040000
	v_accvgpr_write_b32 a143, 0                                // 000000004250: D3D9408F 18000080
	v_mov_b32_e32 v210, 0                                      // 000000004258: 7FA40280
	s_mov_b32 s71, s3                                          // 00000000425C: BEC70003
	v_cvt_f32_u32_e32 v28, s44                                 // 000000004260: 7E380C2C
	s_sub_i32 s60, 0, s44                                      // 000000004264: 81BC2C80
	v_rcp_iflag_f32_e32 v28, v28                               // 000000004268: 7E38471C
	s_nop 0                                                    // 00000000426C: BF800000
	v_mul_f32_e32 v28, 0x4f7ffffe, v28                         // 000000004270: 0A3838FF 4F7FFFFE
	v_cvt_u32_f32_e32 v28, v28                                 // 000000004278: 7E380F1C
	v_mul_lo_u32 v29, s60, v28                                 // 00000000427C: D285001D 0002383C
	v_mul_hi_u32 v29, v28, v29                                 // 000000004284: D286001D 00023B1C
	v_add_u32_e32 v28, v28, v29                                // 00000000428C: 68383B1C
	v_mul_hi_u32 v28, s71, v28                                 // 000000004290: D286001C 00023847
	v_mul_lo_u32 v29, v28, s44                                 // 000000004298: D285001D 0000591C
	v_sub_u32_e32 v31, s71, v29                                // 0000000042A0: 6A3E3A47
	v_add_u32_e32 v30, 1, v28                                  // 0000000042A4: 683C3881
	v_cmp_le_u32_e32 vcc, s44, v31                             // 0000000042A8: 7D963E2C
	v_subrev_u32_e32 v29, s44, v31                             // 0000000042AC: 6C3A3E2C
	s_nop 0                                                    // 0000000042B0: BF800000
	v_cndmask_b32_e32 v28, v28, v30, vcc                       // 0000000042B4: 00383D1C
	v_cndmask_b32_e32 v31, v31, v29, vcc                       // 0000000042B8: 003E3B1F
	v_add_u32_e32 v29, 1, v28                                  // 0000000042BC: 683A3881
	v_cmp_le_u32_e32 vcc, s44, v31                             // 0000000042C0: 7D963E2C
	s_nop 1                                                    // 0000000042C4: BF800001
	v_cndmask_b32_e32 v31, v28, v29, vcc                       // 0000000042C8: 003E3B1C
	s_nop 3                                                    // 0000000042CC: BF800003
	v_readfirstlane_b32 s45, v31                               // 0000000042D0: 7E5A051F
	s_nop 3                                                    // 0000000042D4: BF800003
	s_waitcnt lgkmcnt(0)                                       // 0000000042D8: BF8CC07F
	s_mul_i32 s61, s2, 0x80                                    // 0000000042DC: 923DFF02 00000080
	s_sub_i32 s87, s87, s86                                    // 0000000042E4: 81D75657
	s_mov_b32 s86, s91                                         // 0000000042E8: BED6005B
	s_sub_i32 s85, s85, s84                                    // 0000000042EC: 81D55455
	s_mov_b32 s84, s90                                         // 0000000042F0: BED4005A
	s_cmp_gt_i32 s85, 0                                        // 0000000042F4: BF028055
	s_cbranch_scc0 label_1028                                  // 0000000042F8: BF840F69
	s_mov_b32 s59, 0                                           // 0000000042FC: BEBB0080
	s_mov_b32 s58, s85                                         // 000000004300: BEBA0055
	s_cmp_ge_i32 s61, s87                                      // 000000004304: BF03573D
	s_cbranch_scc1 label_1028                                  // 000000004308: BF850F65
	s_mul_i32 s61, s45, s79                                    // 00000000430C: 923D4F2D
	s_mov_b32 s54, s61                                         // 000000004310: BEB6003D
	s_add_u32 s12, s54, s12                                    // 000000004314: 800C0C36
	s_addc_u32 s13, 0, s13                                     // 000000004318: 820D0D80
	s_mul_i32 s60, s86, s6                                     // 00000000431C: 923C0656
	s_mul_hi_u32 s61, s86, s6                                  // 000000004320: 963D0656
	s_and_b32 s61, s61, 0xffff                                 // 000000004324: 863DFF3D 0000FFFF
	s_add_u32 s12, s12, s60                                    // 00000000432C: 800C3C0C
	s_addc_u32 s13, s13, s61                                   // 000000004330: 820D3D0D
	s_mul_i32 s61, s45, s80                                    // 000000004334: 923D502D
	s_mov_b32 s54, s61                                         // 000000004338: BEB6003D
	s_add_u32 s16, s54, s16                                    // 00000000433C: 80101036
	s_addc_u32 s17, 0, s17                                     // 000000004340: 82111180
	s_mul_i32 s60, s86, s7                                     // 000000004344: 923C0756
	s_mul_hi_u32 s61, s86, s7                                  // 000000004348: 963D0756
	s_and_b32 s61, s61, 0xffff                                 // 00000000434C: 863DFF3D 0000FFFF
	s_add_u32 s16, s16, s60                                    // 000000004354: 80103C10
	s_addc_u32 s17, s17, s61                                   // 000000004358: 82113D11
	s_mul_i32 s61, s3, s78                                     // 00000000435C: 923D4E03
	s_mov_b32 s55, s61                                         // 000000004360: BEB7003D
	s_add_u32 s8, s55, s8                                      // 000000004364: 80080837
	s_addc_u32 s9, 0, s9                                       // 000000004368: 82090980
	s_mul_i32 s60, s84, s5                                     // 00000000436C: 923C0554
	s_mul_hi_u32 s61, s84, s5                                  // 000000004370: 963D0554
	s_and_b32 s61, s61, 0xffff                                 // 000000004374: 863DFF3D 0000FFFF
	s_add_u32 s8, s8, s60                                      // 00000000437C: 80083C08
	s_addc_u32 s9, s9, s61                                     // 000000004380: 82093D09
	s_mul_i32 s61, s3, s81                                     // 000000004384: 923D5103
	s_mov_b32 s56, s61                                         // 000000004388: BEB8003D
	s_add_u32 s20, s56, s20                                    // 00000000438C: 80141438
	s_addc_u32 s21, 0, s21                                     // 000000004390: 82151580
	s_mul_i32 s60, s84, s51                                    // 000000004394: 923C3354
	s_mul_hi_u32 s61, s84, s51                                 // 000000004398: 963D3354
	s_and_b32 s61, s61, 0xffff                                 // 00000000439C: 863DFF3D 0000FFFF
	s_add_u32 s20, s20, s60                                    // 0000000043A4: 80143C14
	s_addc_u32 s21, s21, s61                                   // 0000000043A8: 82153D15
	s_mul_i32 s62, 4, s84                                      // 0000000043AC: 923E5484
	s_mul_i32 s61, s3, s49                                     // 0000000043B0: 923D3103
	s_add_u32 s65, s61, s62                                    // 0000000043B4: 80413E3D
	s_mov_b32 s26, s85                                         // 0000000043B8: BE9A0055
	s_mov_b32 s30, s85                                         // 0000000043BC: BE9E0055
	s_add_u32 s24, s65, s24                                    // 0000000043C0: 80181841
	s_addc_u32 s25, 0, s25                                     // 0000000043C4: 82191980
	s_add_u32 s28, s65, s28                                    // 0000000043C8: 801C1C41
	s_addc_u32 s29, 0, s29                                     // 0000000043CC: 821D1D80
	s_mul_i32 s61, s3, s82                                     // 0000000043D0: 923D5203
	s_mul_i32 s62, s86, s52                                    // 0000000043D4: 923E3456
	s_add_u32 s60, s61, s62                                    // 0000000043D8: 803C3E3D
	s_mul_hi_u32 s61, s86, s52                                 // 0000000043DC: 963D3456
	s_and_b32 s61, s61, 0xffff                                 // 0000000043E0: 863DFF3D 0000FFFF
	s_add_u32 s36, s60, s36                                    // 0000000043E8: 8024243C
	s_addc_u32 s37, s61, s37                                   // 0000000043EC: 8225253D
	s_mul_i32 s60, s87, s52                                    // 0000000043F0: 923C3457
	s_lshr_b32 s60, s60, 2                                     // 0000000043F4: 8F3C823C
	s_mov_b32 s38, s60                                         // 0000000043F8: BEA6003C
	s_mul_i32 s61, s3, s83                                     // 0000000043FC: 923D5303
	s_mul_i32 s62, s86, s53                                    // 000000004400: 923E3556
	s_add_u32 s60, s61, s62                                    // 000000004404: 803C3E3D
	s_mul_hi_u32 s61, s86, s53                                 // 000000004408: 963D3556
	s_and_b32 s61, s61, 0xffff                                 // 00000000440C: 863DFF3D 0000FFFF
	s_add_u32 s40, s60, s40                                    // 000000004414: 8028283C
	s_addc_u32 s41, s61, s41                                   // 000000004418: 8229293D
	s_mul_i32 s60, s87, s53                                    // 00000000441C: 923C3557
	s_lshr_b32 s60, s60, 2                                     // 000000004420: 8F3C823C
	s_mov_b32 s42, s60                                         // 000000004424: BEAA003C
	s_mul_i32 s60, s50, s65                                    // 000000004428: 923C4132
	s_mul_hi_u32 s62, s50, s65                                 // 00000000442C: 963E4132
	s_and_b32 s62, s62, 0xffff                                 // 000000004430: 863EFF3E 0000FFFF
	s_add_u32 s32, s60, s32                                    // 000000004438: 8020203C
	s_addc_u32 s33, s62, s33                                   // 00000000443C: 8221213E
	s_mul_i32 s60, s50, s85                                    // 000000004440: 923C5532
	s_lshl_b32 s60, s60, 2                                     // 000000004444: 8E3C823C
	s_mov_b32 s34, s60                                         // 000000004448: BEA2003C
	s_mov_b32 s90, s8                                          // 00000000444C: BEDA0008
	s_mov_b32 s94, s12                                         // 000000004450: BEDE000C
	s_mov_b32 s96, s16                                         // 000000004454: BEE00010
	s_mov_b32 s98, s20                                         // 000000004458: BEE20014
	s_mov_b32 s91, s9                                          // 00000000445C: BEDB0009
	s_mov_b32 s95, s13                                         // 000000004460: BEDF000D
	s_mov_b32 s97, s17                                         // 000000004464: BEE10011
	s_mov_b32 s99, s21                                         // 000000004468: BEE30015
	s_add_u32 s71, 63, s87                                     // 00000000446C: 804757BF
	s_mov_b32 s74, 64                                          // 000000004470: BECA00C0
	v_cvt_f32_u32_e32 v28, s74                                 // 000000004474: 7E380C4A
	s_sub_i32 s60, 0, s74                                      // 000000004478: 81BC4A80
	v_rcp_iflag_f32_e32 v28, v28                               // 00000000447C: 7E38471C
	s_nop 0                                                    // 000000004480: BF800000
	v_mul_f32_e32 v28, 0x4f7ffffe, v28                         // 000000004484: 0A3838FF 4F7FFFFE
	v_cvt_u32_f32_e32 v28, v28                                 // 00000000448C: 7E380F1C
	v_mul_lo_u32 v29, s60, v28                                 // 000000004490: D285001D 0002383C
	v_mul_hi_u32 v29, v28, v29                                 // 000000004498: D286001D 00023B1C
	v_add_u32_e32 v28, v28, v29                                // 0000000044A0: 68383B1C
	v_mul_hi_u32 v28, s71, v28                                 // 0000000044A4: D286001C 00023847
	v_mul_lo_u32 v29, v28, s74                                 // 0000000044AC: D285001D 0000951C
	v_sub_u32_e32 v31, s71, v29                                // 0000000044B4: 6A3E3A47
	v_add_u32_e32 v30, 1, v28                                  // 0000000044B8: 683C3881
	v_cmp_le_u32_e32 vcc, s74, v31                             // 0000000044BC: 7D963E4A
	v_subrev_u32_e32 v29, s74, v31                             // 0000000044C0: 6C3A3E4A
	s_nop 0                                                    // 0000000044C4: BF800000
	v_cndmask_b32_e32 v28, v28, v30, vcc                       // 0000000044C8: 00383D1C
	v_cndmask_b32_e32 v31, v31, v29, vcc                       // 0000000044CC: 003E3B1F
	v_add_u32_e32 v29, 1, v28                                  // 0000000044D0: 683A3881
	v_cmp_le_u32_e32 vcc, s74, v31                             // 0000000044D4: 7D963E4A
	s_nop 1                                                    // 0000000044D8: BF800001
	v_cndmask_b32_e32 v31, v28, v29, vcc                       // 0000000044DC: 003E3B1C
	s_nop 3                                                    // 0000000044E0: BF800003
	v_readfirstlane_b32 s77, v31                               // 0000000044E4: 7E9A051F
	s_nop 3                                                    // 0000000044E8: BF800003
	v_mov_b32_e32 v28, s47                                     // 0000000044EC: 7E38022F
	v_mul_f32_e32 v28, s48, v28                                // 0000000044F0: 0A383830
	s_mov_b32 s75, 0                                           // 0000000044F4: BECB0080
	s_mov_b32 s76, 1                                           // 0000000044F8: BECC0081
	s_mov_b32 s63, 0x5040100                                   // 0000000044FC: BEBF00FF 05040100
	s_mov_b32 s64, 0x7060302                                   // 000000004504: BEC000FF 07060302
	v_readfirstlane_b32 s57, v28                               // 00000000450C: 7E72051C
	v_mov_b32_e32 v30, 0x3020706                               // 000000004510: 7E3C02FF 03020706
	v_mov_b32_e32 v28, s63                                     // 000000004518: 7E38023F
	v_and_b32_e32 v29, 1, v0                                   // 00000000451C: 263A0081
	v_cmp_eq_u32_e32 vcc, 1, v29                               // 000000004520: 7D943A81
	s_mul_i32 s60, s50, 64                                     // 000000004524: 923CC032
	s_mov_b32 s67, s60                                         // 000000004528: BEC3003C
	v_cndmask_b32_e32 v15, v28, v30, vcc                       // 00000000452C: 001E3D1C
	s_cmp_lt_u32 s46, 2                                        // 000000004530: BF0A822E
	s_cselect_b32 s24, s24, s28                                // 000000004534: 85181C18
	s_cselect_b32 s25, s25, s29                                // 000000004538: 85191D19
	s_cselect_b32 s26, s26, s30                                // 00000000453C: 851A1E1A
	s_cselect_b32 s27, s27, s31                                // 000000004540: 851B1F1B
	s_lshr_b32 s60, s46, 1                                     // 000000004544: 8F3C812E
	s_lshl_b32 s60, s60, 8                                     // 000000004548: 8E3C883C
	s_add_u32 s78, 0x9f00, s60                                 // 00000000454C: 804E3CFF 00009F00
	s_add_u32 s79, 0x200, s78                                  // 000000004554: 804F4EFF 00000200
	s_lshl_b32 s60, s2, 1                                      // 00000000455C: 8E3C8102
	s_add_u32 s60, 1, s60                                      // 000000004560: 803C3C81
	s_cmp_ge_i32 s60, s77                                      // 000000004564: BF034D3C
	s_cselect_b32 s76, s76, 2                                  // 000000004568: 854C824C

000000000000456c <label_015B>:
	s_mov_b32 m0, s78                                          // 00000000456C: BEFC004E
	s_mov_b32 s66, 0                                           // 000000004570: BEC20080
	v_mov_b32_e32 v159, 0xff800000                             // 000000004574: 7F3E02FF FF800000
	s_mov_b32 s74, 0                                           // 00000000457C: BECA0080
	s_mul_i32 s68, 4, s5                                       // 000000004580: 92440584
	s_mul_i32 s100, 4, s51                                     // 000000004584: 92643384
	s_mov_b32 s69, 16                                          // 000000004588: BEC50090
	s_mul_i32 s45, 64, s2                                      // 00000000458C: 922D02C0
	s_sub_i32 s60, s87, s85                                    // 000000004590: 81BC5557
	s_sub_i32 s71, s45, s60                                    // 000000004594: 81C73C2D
	s_cmp_ge_i32 s71, 0                                        // 000000004598: BF038047
	s_cselect_b32 s59, s71, 0                                  // 00000000459C: 853B8047
	s_add_i32 s60, s71, 64                                     // 0000000045A0: 813CC047
	s_cmp_le_i32 s60, 0                                        // 0000000045A4: BF05803C
	s_cbranch_scc0 label_016D                                  // 0000000045A8: BF840002
	s_mov_b32 s44, 0                                           // 0000000045AC: BEAC0080
	s_branch label_0179                                        // 0000000045B0: BF82000C

00000000000045b4 <label_016D>:
	s_mov_b32 s44, 1                                           // 0000000045B4: BEAC0081
	s_sub_i32 s60, s59, s71                                    // 0000000045B8: 81BC473B
	v_lshrrev_b32_e32 v28, 4, v0                               // 0000000045BC: 20380084
	v_mul_i32_i24_e32 v28, 4, v28                              // 0000000045C0: 0C383884
	v_add_i32 v28, v28, s60                                    // 0000000045C4: D29C001C 0000791C
	v_and_b32_e32 v29, 15, v0                                  // 0000000045CC: 263A008F
	v_mul_i32_i24_e64 v30, s46, 16                             // 0000000045D0: D106001E 0001202E
	v_add_u32_e32 v29, v29, v30                                // 0000000045D8: 683A3D1D
	v_sub_i32 v210, v29, v28                                   // 0000000045DC: D29D00D2 0002391D

00000000000045e4 <label_0179>:
	s_mul_i32 s54, s6, s45                                     // 0000000045E4: 92362D06
	s_sub_i32 s61, s87, s45                                    // 0000000045E8: 81BD2D57
	s_mul_i32 s62, s6, s61                                     // 0000000045EC: 923E3D06
	s_lshr_b32 s62, s62, 2                                     // 0000000045F0: 8F3E823E
	s_mov_b32 s14, s62                                         // 0000000045F4: BE8E003E
	s_add_u32 s12, s54, s94                                    // 0000000045F8: 800C5E36
	s_addc_u32 s13, 0, s95                                     // 0000000045FC: 820D5F80
	s_mul_i32 s54, s7, s45                                     // 000000004600: 92362D07
	s_mul_i32 s62, s7, s61                                     // 000000004604: 923E3D07
	s_lshr_b32 s62, s62, 2                                     // 000000004608: 8F3E823E
	s_mov_b32 s18, s62                                         // 00000000460C: BE92003E
	s_add_u32 s16, s54, s96                                    // 000000004610: 80106036
	s_addc_u32 s17, 0, s97                                     // 000000004614: 82116180
	s_mov_b32 s71, s6                                          // 000000004618: BEC70006
	v_lshrrev_b32_e32 v28, 4, v0                               // 00000000461C: 20380084
	v_and_b32_e32 v29, 1, v28                                  // 000000004620: 263A3881
	v_lshlrev_b32_e32 v29, 1, v29                              // 000000004624: 243A3A81
	v_mul_i32_i24_e32 v29, s71, v29                            // 000000004628: 0C3A3A47
	v_and_b32_e32 v30, 2, v28                                  // 00000000462C: 263C3882
	v_lshlrev_b32_e32 v30, 5, v30                              // 000000004630: 243C3C85
	v_add_u32_e32 v29, v30, v29                                // 000000004634: 683A3B1E
	v_and_b32_e32 v28, 15, v0                                  // 000000004638: 2638008F
	v_lshlrev_b32_e32 v28, 2, v28                              // 00000000463C: 24383882
	v_add_u32_e32 v1, v28, v29                                 // 000000004640: 68023B1C
	s_mul_i32 s60, s46, s71                                    // 000000004644: 923C472E
	s_mul_i32 s60, s60, 4                                      // 000000004648: 923C843C
	v_add_u32_e32 v1, s60, v1                                  // 00000000464C: 6802023C
	v_add_u32_e32 v2, s71, v1                                  // 000000004650: 68040247
	s_mov_b32 s71, s7                                          // 000000004654: BEC70007
	v_lshrrev_b32_e32 v28, 4, v0                               // 000000004658: 20380084
	v_and_b32_e32 v29, 1, v28                                  // 00000000465C: 263A3881
	v_lshlrev_b32_e32 v29, 1, v29                              // 000000004660: 243A3A81
	v_mul_i32_i24_e32 v29, s71, v29                            // 000000004664: 0C3A3A47
	v_and_b32_e32 v30, 2, v28                                  // 000000004668: 263C3882
	v_lshlrev_b32_e32 v30, 5, v30                              // 00000000466C: 243C3C85
	v_add_u32_e32 v29, v30, v29                                // 000000004670: 683A3B1E
	v_and_b32_e32 v28, 15, v0                                  // 000000004674: 2638008F
	v_lshlrev_b32_e32 v28, 2, v28                              // 000000004678: 24383882
	v_add_u32_e32 v208, v28, v29                               // 00000000467C: 69A03B1C
	s_mul_i32 s60, s46, s71                                    // 000000004680: 923C472E
	s_mul_i32 s60, s60, 4                                      // 000000004684: 923C843C
	v_add_u32_e32 v208, s60, v208                              // 000000004688: 69A1A03C
	v_add_u32_e32 v209, s71, v208                              // 00000000468C: 69A3A047
	v_lshrrev_b32_e32 v1, 2, v1                                // 000000004690: 20020282
	v_lshrrev_b32_e32 v2, 2, v2                                // 000000004694: 20040482
	v_lshrrev_b32_e32 v208, 2, v208                            // 000000004698: 21A1A082
	v_lshrrev_b32_e32 v209, 2, v209                            // 00000000469C: 21A3A282
	s_mov_b32 s70, s52                                         // 0000000046A0: BEC60034
	v_lshrrev_b32_e32 v28, 3, v0                               // 0000000046A4: 20380083
	v_mul_i32_i24_e32 v3, s70, v28                             // 0000000046A8: 0C063846
	v_lshrrev_b32_e32 v3, 2, v3                                // 0000000046AC: 20060682
	v_and_b32_e32 v28, 7, v0                                   // 0000000046B0: 26380087
	v_lshlrev_b32_e32 v29, 2, v28                              // 0000000046B4: 243A3882
	v_add_u32_e32 v3, v29, v3                                  // 0000000046B8: 6806071D
	s_mul_i32 s60, 16, s70                                     // 0000000046BC: 923C4690
	s_mul_i32 s60, s46, s60                                    // 0000000046C0: 923C3C2E
	v_lshlrev_b32_e32 v3, 2, v3                                // 0000000046C4: 24060682
	v_add_u32_e32 v3, s60, v3                                  // 0000000046C8: 6806063C
	s_mul_i32 s60, 8, s70                                      // 0000000046CC: 923C4688
	v_add_u32_e32 v4, s60, v3                                  // 0000000046D0: 6808063C
	s_mul_i32 s60, s52, s45                                    // 0000000046D4: 923C2D34
	v_add_u32_e32 v3, s60, v3                                  // 0000000046D8: 6806063C
	v_lshrrev_b32_e32 v3, 2, v3                                // 0000000046DC: 20060682
	v_add_u32_e32 v4, s60, v4                                  // 0000000046E0: 6808083C
	v_lshrrev_b32_e32 v4, 2, v4                                // 0000000046E4: 20080882
	s_mov_b32 s70, s53                                         // 0000000046E8: BEC60035
	v_lshrrev_b32_e32 v28, 3, v0                               // 0000000046EC: 20380083
	v_mul_i32_i24_e32 v5, s70, v28                             // 0000000046F0: 0C0A3846
	v_lshrrev_b32_e32 v5, 2, v5                                // 0000000046F4: 200A0A82
	v_and_b32_e32 v28, 7, v0                                   // 0000000046F8: 26380087
	v_lshlrev_b32_e32 v29, 2, v28                              // 0000000046FC: 243A3882
	v_add_u32_e32 v5, v29, v5                                  // 000000004700: 680A0B1D
	s_mul_i32 s60, 16, s70                                     // 000000004704: 923C4690
	s_mul_i32 s60, s46, s60                                    // 000000004708: 923C3C2E
	v_lshlrev_b32_e32 v5, 2, v5                                // 00000000470C: 240A0A82
	v_add_u32_e32 v5, s60, v5                                  // 000000004710: 680A0A3C
	s_mul_i32 s60, 8, s70                                      // 000000004714: 923C4688
	v_add_u32_e32 v6, s60, v5                                  // 000000004718: 680C0A3C
	s_mul_i32 s60, s53, s45                                    // 00000000471C: 923C2D35
	v_add_u32_e32 v5, s60, v5                                  // 000000004720: 680A0A3C
	v_lshrrev_b32_e32 v5, 2, v5                                // 000000004724: 200A0A82
	v_add_u32_e32 v6, s60, v6                                  // 000000004728: 680C0C3C
	v_lshrrev_b32_e32 v6, 2, v6                                // 00000000472C: 200C0C82
	s_cmp_ge_i32 s59, s85                                      // 000000004730: BF03553B
	s_cselect_b32 s59, s85, s59                                // 000000004734: 853B3B55
	s_add_u32 s73, 16, s59                                     // 000000004738: 80493B90
	s_mul_i32 s55, s5, s59                                     // 00000000473C: 92373B05
	s_sub_i32 s61, s85, s59                                    // 000000004740: 81BD3B55
	s_mul_i32 s62, s5, s61                                     // 000000004744: 923E3D05
	s_lshr_b32 s62, s62, 2                                     // 000000004748: 8F3E823E
	s_mov_b32 s10, s62                                         // 00000000474C: BE8A003E
	s_add_u32 s8, s55, s90                                     // 000000004750: 80085A37
	s_addc_u32 s9, 0, s91                                      // 000000004754: 82095B80
	s_mul_i32 s56, s51, s59                                    // 000000004758: 92383B33
	s_mul_i32 s62, s51, s61                                    // 00000000475C: 923E3D33
	s_lshr_b32 s62, s62, 2                                     // 000000004760: 8F3E823E
	s_mov_b32 s22, s62                                         // 000000004764: BE96003E
	s_add_u32 s20, s56, s98                                    // 000000004768: 80146238
	s_addc_u32 s21, 0, s99                                     // 00000000476C: 82156380
	s_mul_i32 s65, s59, 4                                      // 000000004770: 9241843B
	v_and_b32_e32 v9, 15, v0                                   // 000000004774: 2612008F
	v_lshlrev_b32_e32 v9, 2, v9                                // 000000004778: 24121282
	v_add_u32_e32 v9, s65, v9                                  // 00000000477C: 68121241
	v_lshrrev_b32_e32 v9, 2, v9                                // 000000004780: 20121282
	v_lshrrev_b32_e32 v28, 5, v0                               // 000000004784: 20380085
	v_mul_i32_i24_e64 v29, s50, 2                              // 000000004788: D106001D 00010432
	v_mul_i32_i24_e32 v7, v29, v28                             // 000000004790: 0C0E391D
	v_and_b32_e32 v28, 31, v0                                  // 000000004794: 2638009F
	v_add_u32_e32 v7, v28, v7                                  // 000000004798: 680E0F1C
	s_mul_i32 s60, 4, s50                                      // 00000000479C: 923C3284
	s_mul_i32 s60, s46, s60                                    // 0000000047A0: 923C3C2E
	v_add_u32_e32 v7, s60, v7                                  // 0000000047A4: 680E0E3C
	v_lshlrev_b32_e32 v7, 2, v7                                // 0000000047A8: 240E0E82
	v_mul_i32_i24_e32 v29, 2, v29                              // 0000000047AC: 0C3A3A82
	v_add_u32_e32 v8, v29, v7                                  // 0000000047B0: 68100F1D
	s_mul_i32 s60, s50, s65                                    // 0000000047B4: 923C4132
	v_add_u32_e32 v7, s60, v7                                  // 0000000047B8: 680E0E3C
	v_add_u32_e32 v8, s60, v8                                  // 0000000047BC: 6810103C
	v_lshrrev_b32_e32 v28, 2, v0                               // 0000000047C0: 20380082
	v_and_b32_e32 v29, 3, v28                                  // 0000000047C4: 263A3883
	v_lshrrev_b32_e32 v30, 3, v28                              // 0000000047C8: 203C3883
	v_lshlrev_b32_e32 v30, 2, v30                              // 0000000047CC: 243C3C82
	v_add_u32_e32 v28, v30, v29                                // 0000000047D0: 68383B1E
	v_mov_b32_e32 v30, s50                                     // 0000000047D4: 7E3C0232
	v_mov_b32_e32 v29, 0x80                                    // 0000000047D8: 7E3A02FF 00000080
	v_sub_u32_e32 v30, v30, v29                                // 0000000047E0: 6A3C3B1E
	v_lshrrev_b32_e32 v30, 3, v30                              // 0000000047E4: 203C3C83
	v_cmp_lt_u32_e64 s[80:81], v28, v30                        // 0000000047E8: D0C90050 00023D1C
	v_and_b32_e32 v28, 31, v0                                  // 0000000047F0: 2638009F
	v_lshrrev_b32_e32 v28, 3, v28                              // 0000000047F4: 20383883
	v_mov_b32_e32 v29, s50                                     // 0000000047F8: 7E3A0232
	v_mov_b32_e32 v30, 0x80                                    // 0000000047FC: 7E3C02FF 00000080
	v_sub_u32_e32 v29, v29, v30                                // 000000004804: 6A3A3D1D
	v_lshrrev_b32_e32 v29, 3, v29                              // 000000004808: 203A3A83
	v_cmp_lt_u32_e64 s[82:83], v28, v29                        // 00000000480C: D0C90052 00023B1C
	v_add_u32_e32 v28, 4, v28                                  // 000000004814: 68383884
	v_cmp_lt_u32_e64 s[92:93], v28, v29                        // 000000004818: D0C9005C 00023B1C
	s_mul_i32 s60, 64, s2                                      // 000000004820: 923C02C0
	s_sub_i32 s84, s87, s60                                    // 000000004824: 81D43C57
	v_and_b32_e32 v28, 31, v0                                  // 000000004828: 2638009F
	v_lshrrev_b32_e32 v28, 1, v28                              // 00000000482C: 20383881
	v_and_b32_e32 v29, 1, v28                                  // 000000004830: 263A3881
	v_lshlrev_b32_e32 v29, 4, v29                              // 000000004834: 243A3A84
	v_and_b32_e32 v30, 2, v28                                  // 000000004838: 263C3882
	v_lshlrev_b32_e32 v30, 2, v30                              // 00000000483C: 243C3C82
	v_add_u32_e32 v29, v30, v29                                // 000000004840: 683A3B1E
	v_and_b32_e32 v30, 12, v28                                 // 000000004844: 263C388C
	v_lshrrev_b32_e32 v30, 1, v30                              // 000000004848: 203C3C81
	v_add_u32_e32 v29, v30, v29                                // 00000000484C: 683A3B1E
	v_lshrrev_b32_e32 v28, 5, v0                               // 000000004850: 20380085
	v_mul_i32_i24_e32 v30, 0x80, v28                           // 000000004854: 0C3C38FF 00000080
	v_add_u32_e32 v29, v30, v29                                // 00000000485C: 683A3B1E
	v_and_b32_e32 v30, 1, v0                                   // 000000004860: 263C0081
	v_add_u32_e32 v11, v30, v29                                // 000000004864: 68163B1E
	s_mul_i32 s60, s46, 32                                     // 000000004868: 923CA02E
	v_add_u32_e32 v11, s60, v11                                // 00000000486C: 6816163C
	v_lshlrev_b32_e32 v11, 2, v11                              // 000000004870: 24161682
	v_lshrrev_b32_e32 v28, 4, v0                               // 000000004874: 20380084
	v_and_b32_e32 v29, 1, v28                                  // 000000004878: 263A3881
	v_lshlrev_b32_e32 v29, 4, v29                              // 00000000487C: 243A3A84
	v_and_b32_e32 v30, 2, v28                                  // 000000004880: 263C3882
	v_mul_i32_i24_e32 v30, 4, v30                              // 000000004884: 0C3C3C84
	v_add_u32_e32 v29, v30, v29                                // 000000004888: 683A3B1E
	v_and_b32_e32 v28, 15, v0                                  // 00000000488C: 2638008F
	v_lshrrev_b32_e32 v30, 2, v28                              // 000000004890: 203C3882
	v_lshlrev_b32_e32 v30, 5, v30                              // 000000004894: 243C3C85
	v_add_u32_e32 v29, v30, v29                                // 000000004898: 683A3B1E
	v_and_b32_e32 v28, 3, v0                                   // 00000000489C: 26380083
	v_and_b32_e32 v30, 1, v28                                  // 0000000048A0: 263C3881
	v_mul_i32_i24_e32 v30, 0x108, v30                          // 0000000048A4: 0C3C3CFF 00000108
	v_add_u32_e32 v29, v30, v29                                // 0000000048AC: 683A3B1E
	v_and_b32_e32 v30, 2, v28                                  // 0000000048B0: 263C3882
	v_lshlrev_b32_e32 v30, 1, v30                              // 0000000048B4: 243C3C81
	v_add_u32_e32 v10, v30, v29                                // 0000000048B8: 68143B1E
	v_lshlrev_b32_e32 v10, 2, v10                              // 0000000048BC: 24141482
	s_mul_i32 s60, s46, 0x1980                                 // 0000000048C0: 923CFF2E 00001980
	v_add_u32_e32 v22, s60, v10                                // 0000000048C8: 682C143C
	v_lshrrev_b32_e32 v28, 5, v0                               // 0000000048CC: 20380085
	v_mul_i32_i24_e32 v13, 0x80, v28                           // 0000000048D0: 0C1A38FF 00000080
	v_and_b32_e32 v28, 31, v0                                  // 0000000048D8: 2638009F
	v_and_b32_e32 v29, 7, v28                                  // 0000000048DC: 263A3887
	v_and_b32_e32 v30, 1, v29                                  // 0000000048E0: 263C3A81
	v_lshlrev_b32_e32 v30, 2, v30                              // 0000000048E4: 243C3C82
	v_add_u32_e32 v13, v30, v13                                // 0000000048E8: 681A1B1E
	v_and_b32_e32 v30, 2, v29                                  // 0000000048EC: 263C3A82
	v_lshlrev_b32_e32 v30, 3, v30                              // 0000000048F0: 243C3C83
	v_add_u32_e32 v13, v30, v13                                // 0000000048F4: 681A1B1E
	v_and_b32_e32 v30, 4, v29                                  // 0000000048F8: 263C3A84
	v_lshlrev_b32_e32 v30, 1, v30                              // 0000000048FC: 243C3C81
	v_add_u32_e32 v13, v30, v13                                // 000000004900: 681A1B1E
	v_lshrrev_b32_e32 v29, 3, v28                              // 000000004904: 203A3883
	v_and_b32_e32 v30, 1, v29                                  // 000000004908: 263C3A81
	v_lshlrev_b32_e32 v30, 1, v30                              // 00000000490C: 243C3C81
	v_add_u32_e32 v13, v30, v13                                // 000000004910: 681A1B1E
	v_and_b32_e32 v30, 2, v29                                  // 000000004914: 263C3A82
	v_lshrrev_b32_e32 v30, 1, v30                              // 000000004918: 203C3C81
	v_add_u32_e32 v13, v30, v13                                // 00000000491C: 681A1B1E
	s_mul_i32 s60, s46, 32                                     // 000000004920: 923CA02E
	v_add_u32_e32 v13, s60, v13                                // 000000004924: 681A1A3C
	v_lshlrev_b32_e32 v13, 2, v13                              // 000000004928: 241A1A82
	v_and_b32_e32 v28, 15, v0                                  // 00000000492C: 2638008F
	v_and_b32_e32 v30, 1, v28                                  // 000000004930: 263C3881
	v_mul_i32_i24_e32 v12, 0x108, v30                          // 000000004934: 0C183CFF 00000108
	v_and_b32_e32 v30, 2, v28                                  // 00000000493C: 263C3882
	v_lshlrev_b32_e32 v30, 1, v30                              // 000000004940: 243C3C81
	v_add_u32_e32 v12, v30, v12                                // 000000004944: 6818191E
	v_and_b32_e32 v30, 4, v28                                  // 000000004948: 263C3884
	v_lshlrev_b32_e32 v30, 2, v30                              // 00000000494C: 243C3C82
	v_add_u32_e32 v12, v30, v12                                // 000000004950: 6818191E
	v_and_b32_e32 v30, 8, v28                                  // 000000004954: 263C3888
	v_add_u32_e32 v12, v30, v12                                // 000000004958: 6818191E
	v_lshrrev_b32_e32 v28, 4, v0                               // 00000000495C: 20380084
	v_and_b32_e32 v30, 1, v28                                  // 000000004960: 263C3881
	v_lshlrev_b32_e32 v30, 5, v30                              // 000000004964: 243C3C85
	v_add_u32_e32 v12, v30, v12                                // 000000004968: 6818191E
	v_and_b32_e32 v29, 2, v28                                  // 00000000496C: 263A3882
	v_mul_i32_i24_e32 v30, 32, v29                             // 000000004970: 0C3C3AA0
	v_add_u32_e32 v12, v30, v12                                // 000000004974: 6818191E
	v_lshlrev_b32_e32 v12, 2, v12                              // 000000004978: 24181882
	v_lshrrev_b32_e32 v28, 4, v0                               // 00000000497C: 20380084
	v_mul_i32_i24_e32 v21, 4, v28                              // 000000004980: 0C2A3884
	v_and_b32_e32 v29, 3, v0                                   // 000000004984: 263A0083
	v_add_u32_e32 v21, v29, v21                                // 000000004988: 682A2B1D
	v_lshlrev_b32_e32 v21, 2, v21                              // 00000000498C: 242A2A82
	v_lshrrev_b32_e32 v28, 5, v0                               // 000000004990: 20380085
	v_mul_i32_i24_e32 v26, 0x104, v28                          // 000000004994: 0C3438FF 00000104
	v_and_b32_e32 v28, 31, v0                                  // 00000000499C: 2638009F
	v_and_b32_e32 v29, 7, v28                                  // 0000000049A0: 263A3887
	v_lshlrev_b32_e32 v30, 2, v29                              // 0000000049A4: 243C3A82
	v_add_u32_e32 v26, v30, v26                                // 0000000049A8: 6834351E
	v_lshrrev_b32_e32 v29, 3, v28                              // 0000000049AC: 203A3883
	v_and_b32_e32 v30, 1, v29                                  // 0000000049B0: 263C3A81
	v_mul_i32_i24_e32 v30, 0x82, v30                           // 0000000049B4: 0C3C3CFF 00000082
	v_add_u32_e32 v26, v30, v26                                // 0000000049BC: 6834351E
	v_and_b32_e32 v30, 2, v29                                  // 0000000049C0: 263C3A82
	v_lshrrev_b32_e32 v30, 1, v30                              // 0000000049C4: 203C3C81
	v_add_u32_e32 v26, v30, v26                                // 0000000049C8: 6834351E
	s_mul_i32 s60, s46, 32                                     // 0000000049CC: 923CA02E
	v_add_u32_e32 v26, s60, v26                                // 0000000049D0: 6834343C
	v_lshlrev_b32_e32 v26, 2, v26                              // 0000000049D4: 24343482
	v_lshrrev_b32_e32 v28, 5, v0                               // 0000000049D8: 20380085
	v_mul_i32_i24_e32 v23, 0x618, v28                          // 0000000049DC: 0C2E38FF 00000618
	v_and_b32_e32 v28, 31, v0                                  // 0000000049E4: 2638009F
	v_lshlrev_b32_e32 v28, 1, v28                              // 0000000049E8: 24383881
	v_add_u32_e32 v23, v28, v23                                // 0000000049EC: 682E2F1C
	s_mul_i32 s60, s46, 0x186                                  // 0000000049F0: 923CFF2E 00000186
	v_add_u32_e32 v23, s60, v23                                // 0000000049F8: 682E2E3C
	v_lshlrev_b32_e32 v23, 2, v23                              // 0000000049FC: 242E2E82
	v_lshrrev_b32_e32 v28, 4, v0                               // 000000004A00: 20380084
	v_and_b32_e32 v29, 1, v28                                  // 000000004A04: 263A3881
	v_mul_i32_i24_e32 v19, 0x100, v29                          // 000000004A08: 0C263AFF 00000100
	v_and_b32_e32 v29, 2, v28                                  // 000000004A10: 263A3882
	v_mul_i32_i24_e32 v29, 64, v29                             // 000000004A14: 0C3A3AC0
	v_add_u32_e32 v19, v29, v19                                // 000000004A18: 6826271D
	v_and_b32_e32 v28, 15, v0                                  // 000000004A1C: 2638008F
	v_mul_i32_i24_e32 v29, 2, v28                              // 000000004A20: 0C3A3882
	v_add_u32_e32 v19, v29, v19                                // 000000004A24: 6826271D
	s_mul_i32 s60, s46, 32                                     // 000000004A28: 923CA02E
	v_add_u32_e32 v19, s60, v19                                // 000000004A2C: 6826263C
	v_lshlrev_b32_e32 v19, 2, v19                              // 000000004A30: 24262682
	v_lshlrev_b32_e32 v20, 1, v0                               // 000000004A34: 24280081
	s_mul_i32 s60, s46, 0x300                                  // 000000004A38: 923CFF2E 00000300
	v_add_u32_e32 v20, s60, v20                                // 000000004A40: 6828283C
	v_lshlrev_b32_e32 v20, 2, v20                              // 000000004A44: 24282882
	v_lshrrev_b32_e32 v28, 5, v0                               // 000000004A48: 20380085
	v_mul_i32_i24_e32 v17, 64, v28                             // 000000004A4C: 0C2238C0
	v_and_b32_e32 v28, 31, v0                                  // 000000004A50: 2638009F
	v_and_b32_e32 v28, 3, v28                                  // 000000004A54: 26383883
	v_and_b32_e32 v29, 1, v28                                  // 000000004A58: 263A3881
	v_mul_i32_i24_e32 v29, 4, v29                              // 000000004A5C: 0C3A3A84
	v_add_u32_e32 v17, v29, v17                                // 000000004A60: 6822231D
	v_and_b32_e32 v29, 2, v28                                  // 000000004A64: 263A3882
	v_mul_i32_i24_e32 v29, 0x44, v29                           // 000000004A68: 0C3A3AFF 00000044
	v_add_u32_e32 v17, v29, v17                                // 000000004A70: 6822231D
	v_and_b32_e32 v28, 31, v0                                  // 000000004A74: 2638009F
	v_lshrrev_b32_e32 v28, 2, v28                              // 000000004A78: 20383882
	v_lshrrev_b32_e32 v30, 2, v28                              // 000000004A7C: 203C3882
	v_mul_i32_i24_e32 v29, 16, v30                             // 000000004A80: 0C3A3C90
	v_add_u32_e32 v17, v29, v17                                // 000000004A84: 6822231D
	v_and_b32_e32 v29, 2, v28                                  // 000000004A88: 263A3882
	v_lshlrev_b32_e32 v29, 4, v29                              // 000000004A8C: 243A3A84
	v_add_u32_e32 v17, v29, v17                                // 000000004A90: 6822231D
	v_and_b32_e32 v29, 1, v28                                  // 000000004A94: 263A3881
	v_xor_b32_e32 v29, v30, v29                                // 000000004A98: 2A3A3B1E
	v_mul_i32_i24_e32 v29, 8, v29                              // 000000004A9C: 0C3A3A88
	v_add_u32_e32 v17, v29, v17                                // 000000004AA0: 6822231D
	v_lshlrev_b32_e32 v17, 2, v17                              // 000000004AA4: 24222282
	v_lshrrev_b32_e32 v28, 5, v0                               // 000000004AA8: 20380085
	v_mul_i32_i24_e32 v18, 32, v28                             // 000000004AAC: 0C2438A0
	v_and_b32_e32 v28, 31, v0                                  // 000000004AB0: 2638009F
	v_and_b32_e32 v28, 3, v28                                  // 000000004AB4: 26383883
	v_and_b32_e32 v29, 1, v28                                  // 000000004AB8: 263A3881
	v_mul_i32_i24_e32 v29, 4, v29                              // 000000004ABC: 0C3A3A84
	v_add_u32_e32 v18, v29, v18                                // 000000004AC0: 6824251D
	v_and_b32_e32 v29, 2, v28                                  // 000000004AC4: 263A3882
	v_lshrrev_b32_e32 v29, 1, v29                              // 000000004AC8: 203A3A81
	v_add_u32_e32 v18, v29, v18                                // 000000004ACC: 6824251D
	v_and_b32_e32 v28, 31, v0                                  // 000000004AD0: 2638009F
	v_lshrrev_b32_e32 v28, 2, v28                              // 000000004AD4: 20383882
	v_and_b32_e32 v30, 1, v28                                  // 000000004AD8: 263C3881
	v_mul_i32_i24_e32 v29, 16, v30                             // 000000004ADC: 0C3A3C90
	v_add_u32_e32 v18, v29, v18                                // 000000004AE0: 6824251D
	v_and_b32_e32 v29, 2, v28                                  // 000000004AE4: 263A3882
	v_add_u32_e32 v18, v29, v18                                // 000000004AE8: 6824251D
	v_lshrrev_b32_e32 v29, 2, v28                              // 000000004AEC: 203A3882
	v_xor_b32_e32 v29, v30, v29                                // 000000004AF0: 2A3A3B1E
	v_mul_i32_i24_e32 v29, 8, v29                              // 000000004AF4: 0C3A3A88
	v_add_u32_e32 v18, v29, v18                                // 000000004AF8: 6824251D
	s_and_b32 s60, 1, s46                                      // 000000004AFC: 863C2E81
	s_mul_i32 s60, s60, 64                                     // 000000004B00: 923CC03C
	s_lshr_b32 s61, s46, 1                                     // 000000004B04: 8F3D812E
	s_mul_i32 s61, s61, 0x120                                  // 000000004B08: 923DFF3D 00000120
	s_add_u32 s60, s60, s61                                    // 000000004B10: 803C3D3C
	v_add_u32_e32 v18, s60, v18                                // 000000004B14: 6824243C
	v_lshlrev_b32_e32 v18, 2, v18                              // 000000004B18: 24242482
	buffer_load_dword v160, v1, s[12:15], 0 idxen              // 000000004B1C: E0502000 8003A001
	buffer_load_dword v161, v2, s[12:15], 0 idxen              // 000000004B24: E0502000 8003A102
	buffer_load_dword v162, v1, s[12:15], 0 idxen offset:128   // 000000004B2C: E0502080 8003A201
	buffer_load_dword v163, v2, s[12:15], 0 idxen offset:128   // 000000004B34: E0502080 8003A302
	v_mov_b32_e32 v164, 0                                      // 000000004B3C: 7F480280
	s_mov_b64 exec, s[80:81]                                   // 000000004B40: BEFE0150
	buffer_load_dword v164, v1, s[12:15], 0 idxen offset:256   // 000000004B44: E0502100 8003A401
	s_mov_b32 exec_lo, -1                                      // 000000004B4C: BEFE00C1
	s_mov_b32 exec_hi, -1                                      // 000000004B50: BEFF00C1
	v_mov_b32_e32 v165, 0                                      // 000000004B54: 7F4A0280
	s_mov_b64 exec, s[80:81]                                   // 000000004B58: BEFE0150
	buffer_load_dword v165, v2, s[12:15], 0 idxen offset:256   // 000000004B5C: E0502100 8003A502
	s_mov_b32 exec_lo, -1                                      // 000000004B64: BEFE00C1
	s_mov_b32 exec_hi, -1                                      // 000000004B68: BEFF00C1
	s_mul_i32 s60, 4, s6                                       // 000000004B6C: 923C0684
	v_add_u32_e32 v1, s60, v1                                  // 000000004B70: 6802023C
	v_add_u32_e32 v2, s60, v2                                  // 000000004B74: 6804043C
	buffer_load_dword v166, v1, s[12:15], 0 idxen              // 000000004B78: E0502000 8003A601
	buffer_load_dword v167, v2, s[12:15], 0 idxen              // 000000004B80: E0502000 8003A702
	buffer_load_dword v168, v1, s[12:15], 0 idxen offset:128   // 000000004B88: E0502080 8003A801
	buffer_load_dword v169, v2, s[12:15], 0 idxen offset:128   // 000000004B90: E0502080 8003A902
	v_mov_b32_e32 v170, 0                                      // 000000004B98: 7F540280
	s_mov_b64 exec, s[80:81]                                   // 000000004B9C: BEFE0150
	buffer_load_dword v170, v1, s[12:15], 0 idxen offset:256   // 000000004BA0: E0502100 8003AA01
	s_mov_b32 exec_lo, -1                                      // 000000004BA8: BEFE00C1
	s_mov_b32 exec_hi, -1                                      // 000000004BAC: BEFF00C1
	v_mov_b32_e32 v171, 0                                      // 000000004BB0: 7F560280
	s_mov_b64 exec, s[80:81]                                   // 000000004BB4: BEFE0150
	buffer_load_dword v171, v2, s[12:15], 0 idxen offset:256   // 000000004BB8: E0502100 8003AB02
	s_mov_b32 exec_lo, -1                                      // 000000004BC0: BEFE00C1
	s_mov_b32 exec_hi, -1                                      // 000000004BC4: BEFF00C1
	s_mul_i32 s60, 4, s6                                       // 000000004BC8: 923C0684
	v_add_u32_e32 v1, s60, v1                                  // 000000004BCC: 6802023C
	v_add_u32_e32 v2, s60, v2                                  // 000000004BD0: 6804043C
	buffer_load_dword v172, v1, s[12:15], 0 idxen              // 000000004BD4: E0502000 8003AC01
	buffer_load_dword v173, v2, s[12:15], 0 idxen              // 000000004BDC: E0502000 8003AD02
	buffer_load_dword v174, v1, s[12:15], 0 idxen offset:128   // 000000004BE4: E0502080 8003AE01
	buffer_load_dword v175, v2, s[12:15], 0 idxen offset:128   // 000000004BEC: E0502080 8003AF02
	v_mov_b32_e32 v176, 0                                      // 000000004BF4: 7F600280
	s_mov_b64 exec, s[80:81]                                   // 000000004BF8: BEFE0150
	buffer_load_dword v176, v1, s[12:15], 0 idxen offset:256   // 000000004BFC: E0502100 8003B001
	s_mov_b32 exec_lo, -1                                      // 000000004C04: BEFE00C1
	s_mov_b32 exec_hi, -1                                      // 000000004C08: BEFF00C1
	v_mov_b32_e32 v177, 0                                      // 000000004C0C: 7F620280
	s_mov_b64 exec, s[80:81]                                   // 000000004C10: BEFE0150
	buffer_load_dword v177, v2, s[12:15], 0 idxen offset:256   // 000000004C14: E0502100 8003B102
	s_mov_b32 exec_lo, -1                                      // 000000004C1C: BEFE00C1
	s_mov_b32 exec_hi, -1                                      // 000000004C20: BEFF00C1
	s_mul_i32 s60, 4, s6                                       // 000000004C24: 923C0684
	v_add_u32_e32 v1, s60, v1                                  // 000000004C28: 6802023C
	v_add_u32_e32 v2, s60, v2                                  // 000000004C2C: 6804043C
	buffer_load_dword v178, v1, s[12:15], 0 idxen              // 000000004C30: E0502000 8003B201
	buffer_load_dword v179, v2, s[12:15], 0 idxen              // 000000004C38: E0502000 8003B302
	buffer_load_dword v180, v1, s[12:15], 0 idxen offset:128   // 000000004C40: E0502080 8003B401
	buffer_load_dword v181, v2, s[12:15], 0 idxen offset:128   // 000000004C48: E0502080 8003B502
	v_mov_b32_e32 v182, 0                                      // 000000004C50: 7F6C0280
	s_mov_b64 exec, s[80:81]                                   // 000000004C54: BEFE0150
	buffer_load_dword v182, v1, s[12:15], 0 idxen offset:256   // 000000004C58: E0502100 8003B601
	s_mov_b32 exec_lo, -1                                      // 000000004C60: BEFE00C1
	s_mov_b32 exec_hi, -1                                      // 000000004C64: BEFF00C1
	v_mov_b32_e32 v183, 0                                      // 000000004C68: 7F6E0280
	s_mov_b64 exec, s[80:81]                                   // 000000004C6C: BEFE0150
	buffer_load_dword v183, v2, s[12:15], 0 idxen offset:256   // 000000004C70: E0502100 8003B702
	s_mov_b32 exec_lo, -1                                      // 000000004C78: BEFE00C1
	s_mov_b32 exec_hi, -1                                      // 000000004C7C: BEFF00C1
	s_mul_i32 s60, 4, s6                                       // 000000004C80: 923C0684
	v_add_u32_e32 v1, s60, v1                                  // 000000004C84: 6802023C
	v_add_u32_e32 v2, s60, v2                                  // 000000004C88: 6804043C
	s_waitcnt vmcnt(0) lgkmcnt(0)                              // 000000004C8C: BF8C0070
	s_barrier                                                  // 000000004C90: BF8A0000
	v_perm_b32 v184, v161, v160, s63                           // 000000004C94: D1ED00B8 00FF41A1
	v_perm_b32 v185, v161, v160, s64                           // 000000004C9C: D1ED00B9 010341A1
	v_perm_b32 v186, v163, v162, s63                           // 000000004CA4: D1ED00BA 00FF45A3
	v_perm_b32 v187, v163, v162, s64                           // 000000004CAC: D1ED00BB 010345A3
	v_perm_b32 v188, v165, v164, s63                           // 000000004CB4: D1ED00BC 00FF49A5
	v_perm_b32 v189, v165, v164, s64                           // 000000004CBC: D1ED00BD 010349A5
	v_perm_b32 v190, v167, v166, s63                           // 000000004CC4: D1ED00BE 00FF4DA7
	v_perm_b32 v191, v167, v166, s64                           // 000000004CCC: D1ED00BF 01034DA7
	v_perm_b32 v192, v169, v168, s63                           // 000000004CD4: D1ED00C0 00FF51A9
	v_perm_b32 v193, v169, v168, s64                           // 000000004CDC: D1ED00C1 010351A9
	v_perm_b32 v194, v171, v170, s63                           // 000000004CE4: D1ED00C2 00FF55AB
	v_perm_b32 v195, v171, v170, s64                           // 000000004CEC: D1ED00C3 010355AB
	v_perm_b32 v196, v173, v172, s63                           // 000000004CF4: D1ED00C4 00FF59AD
	v_perm_b32 v197, v173, v172, s64                           // 000000004CFC: D1ED00C5 010359AD
	v_perm_b32 v198, v175, v174, s63                           // 000000004D04: D1ED00C6 00FF5DAF
	v_perm_b32 v199, v175, v174, s64                           // 000000004D0C: D1ED00C7 01035DAF
	v_perm_b32 v200, v177, v176, s63                           // 000000004D14: D1ED00C8 00FF61B1
	v_perm_b32 v201, v177, v176, s64                           // 000000004D1C: D1ED00C9 010361B1
	v_perm_b32 v202, v179, v178, s63                           // 000000004D24: D1ED00CA 00FF65B3
	v_perm_b32 v203, v179, v178, s64                           // 000000004D2C: D1ED00CB 010365B3
	v_perm_b32 v204, v181, v180, s63                           // 000000004D34: D1ED00CC 00FF69B5
	v_perm_b32 v205, v181, v180, s64                           // 000000004D3C: D1ED00CD 010369B5
	v_perm_b32 v206, v183, v182, s63                           // 000000004D44: D1ED00CE 00FF6DB7
	v_perm_b32 v207, v183, v182, s64                           // 000000004D4C: D1ED00CF 01036DB7
	ds_write_b32 v26, v184 offset:26112                        // 000000004D54: D81A6600 0000B81A
	ds_write_b32 v26, v185 offset:26120                        // 000000004D5C: D81A6608 0000B91A
	ds_write_b32 v26, v186 offset:28192                        // 000000004D64: D81A6E20 0000BA1A
	ds_write_b32 v26, v187 offset:28200                        // 000000004D6C: D81A6E28 0000BB1A
	ds_write_b32 v26, v188 offset:30272                        // 000000004D74: D81A7640 0000BC1A
	ds_write_b32 v26, v189 offset:30280                        // 000000004D7C: D81A7648 0000BD1A
	ds_write_b32 v26, v190 offset:32352                        // 000000004D84: D81A7E60 0000BE1A
	ds_write_b32 v26, v191 offset:32360                        // 000000004D8C: D81A7E68 0000BF1A
	ds_write_b32 v26, v192 offset:34432                        // 000000004D94: D81A8680 0000C01A
	ds_write_b32 v26, v193 offset:34440                        // 000000004D9C: D81A8688 0000C11A
	ds_write_b32 v26, v194 offset:36512                        // 000000004DA4: D81A8EA0 0000C21A
	ds_write_b32 v26, v195 offset:36520                        // 000000004DAC: D81A8EA8 0000C31A
	ds_write_b32 v26, v196 offset:38592                        // 000000004DB4: D81A96C0 0000C41A
	ds_write_b32 v26, v197 offset:38600                        // 000000004DBC: D81A96C8 0000C51A
	ds_write_b32 v26, v198 offset:40672                        // 000000004DC4: D81A9EE0 0000C61A
	ds_write_b32 v26, v199 offset:40680                        // 000000004DCC: D81A9EE8 0000C71A
	ds_write_b32 v26, v200 offset:42752                        // 000000004DD4: D81AA700 0000C81A
	ds_write_b32 v26, v201 offset:42760                        // 000000004DDC: D81AA708 0000C91A
	ds_write_b32 v26, v202 offset:44832                        // 000000004DE4: D81AAF20 0000CA1A
	ds_write_b32 v26, v203 offset:44840                        // 000000004DEC: D81AAF28 0000CB1A
	ds_write_b32 v26, v204 offset:46912                        // 000000004DF4: D81AB740 0000CC1A
	ds_write_b32 v26, v205 offset:46920                        // 000000004DFC: D81AB748 0000CD1A
	ds_write_b32 v26, v206 offset:48992                        // 000000004E04: D81ABF60 0000CE1A
	ds_write_b32 v26, v207 offset:49000                        // 000000004E0C: D81ABF68 0000CF1A
	ds_write_b32 v11, v160                                     // 000000004E14: D81A0000 0000A00B
	ds_write_b32 v11, v161 offset:1056                         // 000000004E1C: D81A0420 0000A10B
	ds_write_b32 v11, v162 offset:2176                         // 000000004E24: D81A0880 0000A20B
	ds_write_b32 v11, v163 offset:3232                         // 000000004E2C: D81A0CA0 0000A30B
	ds_write_b32 v11, v164 offset:4352                         // 000000004E34: D81A1100 0000A40B
	ds_write_b32 v11, v165 offset:5408                         // 000000004E3C: D81A1520 0000A50B
	ds_write_b32 v11, v166 offset:6528                         // 000000004E44: D81A1980 0000A60B
	ds_write_b32 v11, v167 offset:7584                         // 000000004E4C: D81A1DA0 0000A70B
	ds_write_b32 v11, v168 offset:8704                         // 000000004E54: D81A2200 0000A80B
	ds_write_b32 v11, v169 offset:9760                         // 000000004E5C: D81A2620 0000A90B
	ds_write_b32 v11, v170 offset:10880                        // 000000004E64: D81A2A80 0000AA0B
	ds_write_b32 v11, v171 offset:11936                        // 000000004E6C: D81A2EA0 0000AB0B
	ds_write_b32 v11, v172 offset:13056                        // 000000004E74: D81A3300 0000AC0B
	ds_write_b32 v11, v173 offset:14112                        // 000000004E7C: D81A3720 0000AD0B
	ds_write_b32 v11, v174 offset:15232                        // 000000004E84: D81A3B80 0000AE0B
	ds_write_b32 v11, v175 offset:16288                        // 000000004E8C: D81A3FA0 0000AF0B
	ds_write_b32 v11, v176 offset:17408                        // 000000004E94: D81A4400 0000B00B
	ds_write_b32 v11, v177 offset:18464                        // 000000004E9C: D81A4820 0000B10B
	ds_write_b32 v11, v178 offset:19584                        // 000000004EA4: D81A4C80 0000B20B
	ds_write_b32 v11, v179 offset:20640                        // 000000004EAC: D81A50A0 0000B30B
	ds_write_b32 v11, v180 offset:21760                        // 000000004EB4: D81A5500 0000B40B
	ds_write_b32 v11, v181 offset:22816                        // 000000004EBC: D81A5920 0000B50B
	ds_write_b32 v11, v182 offset:23936                        // 000000004EC4: D81A5D80 0000B60B
	ds_write_b32 v11, v183 offset:24992                        // 000000004ECC: D81A61A0 0000B70B
	s_waitcnt lgkmcnt(0)                                       // 000000004ED4: BF8CC07F
	s_barrier                                                  // 000000004ED8: BF8A0000
	buffer_load_dword v160, v208, s[16:19], 0 idxen            // 000000004EDC: E0502000 8004A0D0
	buffer_load_dword v161, v209, s[16:19], 0 idxen            // 000000004EE4: E0502000 8004A1D1
	buffer_load_dword v162, v208, s[16:19], 0 idxen offset:128 // 000000004EEC: E0502080 8004A2D0
	buffer_load_dword v163, v209, s[16:19], 0 idxen offset:128 // 000000004EF4: E0502080 8004A3D1
	v_mov_b32_e32 v164, 0                                      // 000000004EFC: 7F480280
	s_mov_b64 exec, s[80:81]                                   // 000000004F00: BEFE0150
	buffer_load_dword v164, v208, s[16:19], 0 idxen offset:256 // 000000004F04: E0502100 8004A4D0
	s_mov_b32 exec_lo, -1                                      // 000000004F0C: BEFE00C1
	s_mov_b32 exec_hi, -1                                      // 000000004F10: BEFF00C1
	v_mov_b32_e32 v165, 0                                      // 000000004F14: 7F4A0280
	s_mov_b64 exec, s[80:81]                                   // 000000004F18: BEFE0150
	buffer_load_dword v165, v209, s[16:19], 0 idxen offset:256 // 000000004F1C: E0502100 8004A5D1
	s_mov_b32 exec_lo, -1                                      // 000000004F24: BEFE00C1
	s_mov_b32 exec_hi, -1                                      // 000000004F28: BEFF00C1
	s_mul_i32 s60, 4, s7                                       // 000000004F2C: 923C0784
	v_add_u32_e32 v208, s60, v208                              // 000000004F30: 69A1A03C
	v_add_u32_e32 v209, s60, v209                              // 000000004F34: 69A3A23C
	buffer_load_dword v166, v208, s[16:19], 0 idxen            // 000000004F38: E0502000 8004A6D0
	buffer_load_dword v167, v209, s[16:19], 0 idxen            // 000000004F40: E0502000 8004A7D1
	buffer_load_dword v168, v208, s[16:19], 0 idxen offset:128 // 000000004F48: E0502080 8004A8D0
	buffer_load_dword v169, v209, s[16:19], 0 idxen offset:128 // 000000004F50: E0502080 8004A9D1
	v_mov_b32_e32 v170, 0                                      // 000000004F58: 7F540280
	s_mov_b64 exec, s[80:81]                                   // 000000004F5C: BEFE0150
	buffer_load_dword v170, v208, s[16:19], 0 idxen offset:256 // 000000004F60: E0502100 8004AAD0
	s_mov_b32 exec_lo, -1                                      // 000000004F68: BEFE00C1
	s_mov_b32 exec_hi, -1                                      // 000000004F6C: BEFF00C1
	v_mov_b32_e32 v171, 0                                      // 000000004F70: 7F560280
	s_mov_b64 exec, s[80:81]                                   // 000000004F74: BEFE0150
	buffer_load_dword v171, v209, s[16:19], 0 idxen offset:256 // 000000004F78: E0502100 8004ABD1
	s_mov_b32 exec_lo, -1                                      // 000000004F80: BEFE00C1
	s_mov_b32 exec_hi, -1                                      // 000000004F84: BEFF00C1
	s_mul_i32 s60, 4, s7                                       // 000000004F88: 923C0784
	v_add_u32_e32 v208, s60, v208                              // 000000004F8C: 69A1A03C
	v_add_u32_e32 v209, s60, v209                              // 000000004F90: 69A3A23C
	buffer_load_dword v172, v208, s[16:19], 0 idxen            // 000000004F94: E0502000 8004ACD0
	buffer_load_dword v173, v209, s[16:19], 0 idxen            // 000000004F9C: E0502000 8004ADD1
	buffer_load_dword v174, v208, s[16:19], 0 idxen offset:128 // 000000004FA4: E0502080 8004AED0
	buffer_load_dword v175, v209, s[16:19], 0 idxen offset:128 // 000000004FAC: E0502080 8004AFD1
	v_mov_b32_e32 v176, 0                                      // 000000004FB4: 7F600280
	s_mov_b64 exec, s[80:81]                                   // 000000004FB8: BEFE0150
	buffer_load_dword v176, v208, s[16:19], 0 idxen offset:256 // 000000004FBC: E0502100 8004B0D0
	s_mov_b32 exec_lo, -1                                      // 000000004FC4: BEFE00C1
	s_mov_b32 exec_hi, -1                                      // 000000004FC8: BEFF00C1
	v_mov_b32_e32 v177, 0                                      // 000000004FCC: 7F620280
	s_mov_b64 exec, s[80:81]                                   // 000000004FD0: BEFE0150
	buffer_load_dword v177, v209, s[16:19], 0 idxen offset:256 // 000000004FD4: E0502100 8004B1D1
	s_mov_b32 exec_lo, -1                                      // 000000004FDC: BEFE00C1
	s_mov_b32 exec_hi, -1                                      // 000000004FE0: BEFF00C1
	s_mul_i32 s60, 4, s7                                       // 000000004FE4: 923C0784
	v_add_u32_e32 v208, s60, v208                              // 000000004FE8: 69A1A03C
	v_add_u32_e32 v209, s60, v209                              // 000000004FEC: 69A3A23C
	buffer_load_dword v178, v208, s[16:19], 0 idxen            // 000000004FF0: E0502000 8004B2D0
	buffer_load_dword v179, v209, s[16:19], 0 idxen            // 000000004FF8: E0502000 8004B3D1
	buffer_load_dword v180, v208, s[16:19], 0 idxen offset:128 // 000000005000: E0502080 8004B4D0
	buffer_load_dword v181, v209, s[16:19], 0 idxen offset:128 // 000000005008: E0502080 8004B5D1
	v_mov_b32_e32 v182, 0                                      // 000000005010: 7F6C0280
	s_mov_b64 exec, s[80:81]                                   // 000000005014: BEFE0150
	buffer_load_dword v182, v208, s[16:19], 0 idxen offset:256 // 000000005018: E0502100 8004B6D0
	s_mov_b32 exec_lo, -1                                      // 000000005020: BEFE00C1
	s_mov_b32 exec_hi, -1                                      // 000000005024: BEFF00C1
	v_mov_b32_e32 v183, 0                                      // 000000005028: 7F6E0280
	s_mov_b64 exec, s[80:81]                                   // 00000000502C: BEFE0150
	buffer_load_dword v183, v209, s[16:19], 0 idxen offset:256 // 000000005030: E0502100 8004B7D1
	s_mov_b32 exec_lo, -1                                      // 000000005038: BEFE00C1
	s_mov_b32 exec_hi, -1                                      // 00000000503C: BEFF00C1
	s_mul_i32 s60, 4, s7                                       // 000000005040: 923C0784
	v_add_u32_e32 v208, s60, v208                              // 000000005044: 69A1A03C
	v_add_u32_e32 v209, s60, v209                              // 000000005048: 69A3A23C
	ds_read_b64 a[24:25], v23 offset:26112                     // 00000000504C: DAEC6600 18000017
	ds_read_b64 a[26:27], v23 offset:26632                     // 000000005054: DAEC6808 1A000017
	ds_read_b64 a[28:29], v23 offset:27152                     // 00000000505C: DAEC6A10 1C000017
	ds_read_b64 a[30:31], v23 offset:26368                     // 000000005064: DAEC6700 1E000017
	ds_read_b64 a[32:33], v23 offset:26888                     // 00000000506C: DAEC6908 20000017
	ds_read_b64 a[34:35], v23 offset:27408                     // 000000005074: DAEC6B10 22000017
	ds_read_b64 a[36:37], v23 offset:38592                     // 00000000507C: DAEC96C0 24000017
	ds_read_b64 a[38:39], v23 offset:39112                     // 000000005084: DAEC98C8 26000017
	ds_read_b64 a[40:41], v23 offset:39632                     // 00000000508C: DAEC9AD0 28000017
	ds_read_b64 a[42:43], v23 offset:38848                     // 000000005094: DAEC97C0 2A000017
	ds_read_b64 a[44:45], v23 offset:39368                     // 00000000509C: DAEC99C8 2C000017
	ds_read_b64 a[46:47], v23 offset:39888                     // 0000000050A4: DAEC9BD0 2E000017
	ds_read_b128 a[0:3], v22                                   // 0000000050AC: DBFE0000 00000016
	ds_read_b128 a[4:7], v22 offset:512                        // 0000000050B4: DBFE0200 04000016
	ds_read_b128 a[8:11], v22 offset:2176                      // 0000000050BC: DBFE0880 08000016
	ds_read_b128 a[12:15], v22 offset:2688                     // 0000000050C4: DBFE0A80 0C000016
	ds_read_b128 a[16:19], v22 offset:4352                     // 0000000050CC: DBFE1100 10000016
	ds_read_b128 a[20:23], v22 offset:4864                     // 0000000050D4: DBFE1300 14000016
	s_waitcnt vmcnt(0) lgkmcnt(0)                              // 0000000050DC: BF8C0070
	s_barrier                                                  // 0000000050E0: BF8A0000
	ds_write_b32 v11, v160                                     // 0000000050E4: D81A0000 0000A00B
	ds_write_b32 v11, v161 offset:1056                         // 0000000050EC: D81A0420 0000A10B
	ds_write_b32 v11, v162 offset:2176                         // 0000000050F4: D81A0880 0000A20B
	ds_write_b32 v11, v163 offset:3232                         // 0000000050FC: D81A0CA0 0000A30B
	ds_write_b32 v11, v164 offset:4352                         // 000000005104: D81A1100 0000A40B
	ds_write_b32 v11, v165 offset:5408                         // 00000000510C: D81A1520 0000A50B
	ds_write_b32 v11, v166 offset:6528                         // 000000005114: D81A1980 0000A60B
	ds_write_b32 v11, v167 offset:7584                         // 00000000511C: D81A1DA0 0000A70B
	ds_write_b32 v11, v168 offset:8704                         // 000000005124: D81A2200 0000A80B
	ds_write_b32 v11, v169 offset:9760                         // 00000000512C: D81A2620 0000A90B
	ds_write_b32 v11, v170 offset:10880                        // 000000005134: D81A2A80 0000AA0B
	ds_write_b32 v11, v171 offset:11936                        // 00000000513C: D81A2EA0 0000AB0B
	ds_write_b32 v11, v172 offset:13056                        // 000000005144: D81A3300 0000AC0B
	ds_write_b32 v11, v173 offset:14112                        // 00000000514C: D81A3720 0000AD0B
	ds_write_b32 v11, v174 offset:15232                        // 000000005154: D81A3B80 0000AE0B
	ds_write_b32 v11, v175 offset:16288                        // 00000000515C: D81A3FA0 0000AF0B
	ds_write_b32 v11, v176 offset:17408                        // 000000005164: D81A4400 0000B00B
	ds_write_b32 v11, v177 offset:18464                        // 00000000516C: D81A4820 0000B10B
	ds_write_b32 v11, v178 offset:19584                        // 000000005174: D81A4C80 0000B20B
	ds_write_b32 v11, v179 offset:20640                        // 00000000517C: D81A50A0 0000B30B
	ds_write_b32 v11, v180 offset:21760                        // 000000005184: D81A5500 0000B40B
	ds_write_b32 v11, v181 offset:22816                        // 00000000518C: D81A5920 0000B50B
	ds_write_b32 v11, v182 offset:23936                        // 000000005194: D81A5D80 0000B60B
	ds_write_b32 v11, v183 offset:24992                        // 00000000519C: D81A61A0 0000B70B
	s_mov_b32 s71, s5                                          // 0000000051A4: BEC70005
	v_lshrrev_b32_e32 v28, 4, v0                               // 0000000051A8: 20380084
	v_and_b32_e32 v29, 1, v28                                  // 0000000051AC: 263A3881
	v_lshlrev_b32_e32 v29, 1, v29                              // 0000000051B0: 243A3A81
	v_mul_i32_i24_e32 v29, s71, v29                            // 0000000051B4: 0C3A3A47
	v_and_b32_e32 v30, 2, v28                                  // 0000000051B8: 263C3882
	v_lshlrev_b32_e32 v30, 5, v30                              // 0000000051BC: 243C3C85
	v_add_u32_e32 v29, v30, v29                                // 0000000051C0: 683A3B1E
	v_and_b32_e32 v28, 15, v0                                  // 0000000051C4: 2638008F
	v_lshlrev_b32_e32 v28, 2, v28                              // 0000000051C8: 24383882
	v_add_u32_e32 v1, v28, v29                                 // 0000000051CC: 68023B1C
	s_mul_i32 s60, s46, s71                                    // 0000000051D0: 923C472E
	s_mul_i32 s60, s60, 4                                      // 0000000051D4: 923C843C
	v_add_u32_e32 v1, s60, v1                                  // 0000000051D8: 6802023C
	v_add_u32_e32 v2, s71, v1                                  // 0000000051DC: 68040247
	s_mov_b32 s71, s51                                         // 0000000051E0: BEC70033
	v_lshrrev_b32_e32 v28, 4, v0                               // 0000000051E4: 20380084
	v_and_b32_e32 v29, 1, v28                                  // 0000000051E8: 263A3881
	v_lshlrev_b32_e32 v29, 1, v29                              // 0000000051EC: 243A3A81
	v_mul_i32_i24_e32 v29, s71, v29                            // 0000000051F0: 0C3A3A47
	v_and_b32_e32 v30, 2, v28                                  // 0000000051F4: 263C3882
	v_lshlrev_b32_e32 v30, 5, v30                              // 0000000051F8: 243C3C85
	v_add_u32_e32 v29, v30, v29                                // 0000000051FC: 683A3B1E
	v_and_b32_e32 v28, 15, v0                                  // 000000005200: 2638008F
	v_lshlrev_b32_e32 v28, 2, v28                              // 000000005204: 24383882
	v_add_u32_e32 v208, v28, v29                               // 000000005208: 69A03B1C
	s_mul_i32 s60, s46, s71                                    // 00000000520C: 923C472E
	s_mul_i32 s60, s60, 4                                      // 000000005210: 923C843C
	v_add_u32_e32 v208, s60, v208                              // 000000005214: 69A1A03C
	v_add_u32_e32 v209, s71, v208                              // 000000005218: 69A3A047
	v_lshrrev_b32_e32 v1, 2, v1                                // 00000000521C: 20020282
	v_lshrrev_b32_e32 v2, 2, v2                                // 000000005220: 20040482
	v_lshrrev_b32_e32 v208, 2, v208                            // 000000005224: 21A1A082
	v_lshrrev_b32_e32 v209, 2, v209                            // 000000005228: 21A3A282
	buffer_load_dword v32, v1, s[8:11], 0 idxen                // 00000000522C: E0502000 80022001
	buffer_load_dword v33, v2, s[8:11], 0 idxen                // 000000005234: E0502000 80022102
	buffer_load_dword v34, v1, s[8:11], 0 idxen offset:128     // 00000000523C: E0502080 80022201
	buffer_load_dword v35, v2, s[8:11], 0 idxen offset:128     // 000000005244: E0502080 80022302
	v_mov_b32_e32 v36, 0                                       // 00000000524C: 7E480280
	s_mov_b64 exec, s[80:81]                                   // 000000005250: BEFE0150
	buffer_load_dword v36, v1, s[8:11], 0 idxen offset:256     // 000000005254: E0502100 80022401
	s_mov_b32 exec_lo, -1                                      // 00000000525C: BEFE00C1
	s_mov_b32 exec_hi, -1                                      // 000000005260: BEFF00C1
	v_mov_b32_e32 v37, 0                                       // 000000005264: 7E4A0280
	s_mov_b64 exec, s[80:81]                                   // 000000005268: BEFE0150
	buffer_load_dword v37, v2, s[8:11], 0 idxen offset:256     // 00000000526C: E0502100 80022502
	s_mov_b32 exec_lo, -1                                      // 000000005274: BEFE00C1
	s_mov_b32 exec_hi, -1                                      // 000000005278: BEFF00C1
	buffer_load_dword v44, v208, s[20:23], 0 idxen             // 00000000527C: E0502000 80052CD0
	buffer_load_dword v45, v209, s[20:23], 0 idxen             // 000000005284: E0502000 80052DD1
	buffer_load_dword v46, v208, s[20:23], 0 idxen offset:128  // 00000000528C: E0502080 80052ED0
	buffer_load_dword v47, v209, s[20:23], 0 idxen offset:128  // 000000005294: E0502080 80052FD1
	v_mov_b32_e32 v48, 0                                       // 00000000529C: 7E600280
	s_mov_b64 exec, s[80:81]                                   // 0000000052A0: BEFE0150
	buffer_load_dword v48, v208, s[20:23], 0 idxen offset:256  // 0000000052A4: E0502100 800530D0
	s_mov_b32 exec_lo, -1                                      // 0000000052AC: BEFE00C1
	s_mov_b32 exec_hi, -1                                      // 0000000052B0: BEFF00C1
	v_mov_b32_e32 v49, 0                                       // 0000000052B4: 7E620280
	s_mov_b64 exec, s[80:81]                                   // 0000000052B8: BEFE0150
	buffer_load_dword v49, v209, s[20:23], 0 idxen offset:256  // 0000000052BC: E0502100 800531D1
	s_mov_b32 exec_lo, -1                                      // 0000000052C4: BEFE00C1
	s_mov_b32 exec_hi, -1                                      // 0000000052C8: BEFF00C1
	s_waitcnt lgkmcnt(0)                                       // 0000000052CC: BF8CC07F
	s_barrier                                                  // 0000000052D0: BF8A0000
	ds_read_b128 a[48:51], v22                                 // 0000000052D4: DBFE0000 30000016
	ds_read_b128 a[52:55], v22 offset:512                      // 0000000052DC: DBFE0200 34000016
	ds_read_b128 a[56:59], v22 offset:2176                     // 0000000052E4: DBFE0880 38000016
	ds_read_b128 a[60:63], v22 offset:2688                     // 0000000052EC: DBFE0A80 3C000016
	ds_read_b128 a[64:67], v22 offset:4352                     // 0000000052F4: DBFE1100 40000016
	ds_read_b128 a[68:71], v22 offset:4864                     // 0000000052FC: DBFE1300 44000016
	v_add_u32_e32 v1, s68, v1                                  // 000000005304: 68020244
	v_add_u32_e32 v2, s68, v2                                  // 000000005308: 68040444
	v_add_u32_e32 v208, s100, v208                             // 00000000530C: 69A1A064
	v_add_u32_e32 v209, s100, v209                             // 000000005310: 69A3A264
	buffer_load_dword v38, v1, s[8:11], 0 idxen                // 000000005314: E0502000 80022601
	buffer_load_dword v39, v2, s[8:11], 0 idxen                // 00000000531C: E0502000 80022702
	buffer_load_dword v40, v1, s[8:11], 0 idxen offset:128     // 000000005324: E0502080 80022801
	buffer_load_dword v41, v2, s[8:11], 0 idxen offset:128     // 00000000532C: E0502080 80022902
	v_mov_b32_e32 v42, 0                                       // 000000005334: 7E540280
	s_mov_b64 exec, s[80:81]                                   // 000000005338: BEFE0150
	buffer_load_dword v42, v1, s[8:11], 0 idxen offset:256     // 00000000533C: E0502100 80022A01
	s_mov_b32 exec_lo, -1                                      // 000000005344: BEFE00C1
	s_mov_b32 exec_hi, -1                                      // 000000005348: BEFF00C1
	v_mov_b32_e32 v43, 0                                       // 00000000534C: 7E560280
	s_mov_b64 exec, s[80:81]                                   // 000000005350: BEFE0150
	buffer_load_dword v43, v2, s[8:11], 0 idxen offset:256     // 000000005354: E0502100 80022B02
	s_mov_b32 exec_lo, -1                                      // 00000000535C: BEFE00C1
	s_mov_b32 exec_hi, -1                                      // 000000005360: BEFF00C1
	buffer_load_dword v50, v208, s[20:23], 0 idxen             // 000000005364: E0502000 800532D0
	buffer_load_dword v51, v209, s[20:23], 0 idxen             // 00000000536C: E0502000 800533D1
	buffer_load_dword v52, v208, s[20:23], 0 idxen offset:128  // 000000005374: E0502080 800534D0
	buffer_load_dword v53, v209, s[20:23], 0 idxen offset:128  // 00000000537C: E0502080 800535D1
	v_mov_b32_e32 v54, 0                                       // 000000005384: 7E6C0280
	s_mov_b64 exec, s[80:81]                                   // 000000005388: BEFE0150
	buffer_load_dword v54, v208, s[20:23], 0 idxen offset:256  // 00000000538C: E0502100 800536D0
	s_mov_b32 exec_lo, -1                                      // 000000005394: BEFE00C1
	s_mov_b32 exec_hi, -1                                      // 000000005398: BEFF00C1
	v_mov_b32_e32 v55, 0                                       // 00000000539C: 7E6E0280
	s_mov_b64 exec, s[80:81]                                   // 0000000053A0: BEFE0150
	buffer_load_dword v55, v209, s[20:23], 0 idxen offset:256  // 0000000053A4: E0502100 800537D1
	s_mov_b32 exec_lo, -1                                      // 0000000053AC: BEFE00C1
	s_mov_b32 exec_hi, -1                                      // 0000000053B0: BEFF00C1
	v_add_u32_e32 v1, s68, v1                                  // 0000000053B4: 68020244
	v_add_u32_e32 v2, s68, v2                                  // 0000000053B8: 68040444
	v_add_u32_e32 v208, s100, v208                             // 0000000053BC: 69A1A064
	v_add_u32_e32 v209, s100, v209                             // 0000000053C0: 69A3A264
	s_waitcnt vmcnt(12) lgkmcnt(0)                             // 0000000053C4: BF8C007C
	s_barrier                                                  // 0000000053C8: BF8A0000
	buffer_load_dword v9, s[24:27], 0 idxen lds                // 0000000053CC: E0512000 80060009
	s_mov_b32 m0, s79                                          // 0000000053D4: BEFC004F
	v_add_u32_e32 v9, s69, v9                                  // 0000000053D8: 68121245
	v_perm_b32 v68, v33, v32, s63                              // 0000000053DC: D1ED0044 00FE4121
	v_perm_b32 v69, v33, v32, s64                              // 0000000053E4: D1ED0045 01024121
	v_perm_b32 v70, v35, v34, s63                              // 0000000053EC: D1ED0046 00FE4523
	v_perm_b32 v71, v35, v34, s64                              // 0000000053F4: D1ED0047 01024523
	v_perm_b32 v72, v37, v36, s63                              // 0000000053FC: D1ED0048 00FE4925
	v_perm_b32 v73, v37, v36, s64                              // 000000005404: D1ED0049 01024925
	ds_write_b32 v13, v68 offset:6528                          // 00000000540C: D81A1980 0000440D
	ds_write_b32 v13, v69 offset:7584                          // 000000005414: D81A1DA0 0000450D
	ds_write_b32 v13, v70 offset:8704                          // 00000000541C: D81A2200 0000460D
	ds_write_b32 v13, v71 offset:9760                          // 000000005424: D81A2620 0000470D
	ds_write_b32 v13, v72 offset:10880                         // 00000000542C: D81A2A80 0000480D
	ds_write_b32 v13, v73 offset:11936                         // 000000005434: D81A2EA0 0000490D
	ds_write_b32 v11, v32                                      // 00000000543C: D81A0000 0000200B
	ds_write_b32 v11, v33 offset:1056                          // 000000005444: D81A0420 0000210B
	ds_write_b32 v11, v34 offset:2176                          // 00000000544C: D81A0880 0000220B
	ds_write_b32 v11, v35 offset:3232                          // 000000005454: D81A0CA0 0000230B
	ds_write_b32 v11, v36 offset:4352                          // 00000000545C: D81A1100 0000240B
	ds_write_b32 v11, v37 offset:5408                          // 000000005464: D81A1520 0000250B
	buffer_load_dword v9, s[24:27], 0 idxen lds                // 00000000546C: E0512000 80060009
	s_mov_b32 m0, s78                                          // 000000005474: BEFC004E
	v_add_u32_e32 v9, s69, v9                                  // 000000005478: 68121245
	v_perm_b32 v74, v45, v44, s63                              // 00000000547C: D1ED004A 00FE592D
	v_perm_b32 v75, v45, v44, s64                              // 000000005484: D1ED004B 0102592D
	v_perm_b32 v76, v47, v46, s63                              // 00000000548C: D1ED004C 00FE5D2F
	v_perm_b32 v77, v47, v46, s64                              // 000000005494: D1ED004D 01025D2F
	v_perm_b32 v78, v49, v48, s63                              // 00000000549C: D1ED004E 00FE6131
	v_perm_b32 v79, v49, v48, s64                              // 0000000054A4: D1ED004F 01026131
	ds_write_b32 v13, v74 offset:19584                         // 0000000054AC: D81A4C80 00004A0D
	ds_write_b32 v13, v75 offset:20640                         // 0000000054B4: D81A50A0 00004B0D
	ds_write_b32 v13, v76 offset:21760                         // 0000000054BC: D81A5500 00004C0D
	ds_write_b32 v13, v77 offset:22816                         // 0000000054C4: D81A5920 00004D0D
	ds_write_b32 v13, v78 offset:23936                         // 0000000054CC: D81A5D80 00004E0D
	ds_write_b32 v13, v79 offset:24992                         // 0000000054D4: D81A61A0 00004F0D
	ds_write_b32 v11, v44 offset:13056                         // 0000000054DC: D81A3300 00002C0B
	ds_write_b32 v11, v45 offset:14112                         // 0000000054E4: D81A3720 00002D0B
	ds_write_b32 v11, v46 offset:15232                         // 0000000054EC: D81A3B80 00002E0B
	ds_write_b32 v11, v47 offset:16288                         // 0000000054F4: D81A3FA0 00002F0B
	ds_write_b32 v11, v48 offset:17408                         // 0000000054FC: D81A4400 0000300B
	ds_write_b32 v11, v49 offset:18464                         // 000000005504: D81A4820 0000310B
	s_waitcnt vmcnt(1) lgkmcnt(0)                              // 00000000550C: BF8C0071
	s_barrier                                                  // 000000005510: BF8A0000
	ds_read_b128 a[72:75], v10                                 // 000000005514: DBFE0000 4800000A
	ds_read_b128 a[76:79], v10 offset:512                      // 00000000551C: DBFE0200 4C00000A
	ds_read_b128 a[80:83], v10 offset:2176                     // 000000005524: DBFE0880 5000000A
	ds_read_b128 a[84:87], v10 offset:2688                     // 00000000552C: DBFE0A80 5400000A
	ds_read_b128 a[88:91], v10 offset:4352                     // 000000005534: DBFE1100 5800000A
	ds_read_b128 a[92:95], v10 offset:4864                     // 00000000553C: DBFE1300 5C00000A
	ds_read_b128 v[80:83], v10 offset:13056                    // 000000005544: D9FE3300 5000000A
	ds_read_b128 v[84:87], v10 offset:13568                    // 00000000554C: D9FE3500 5400000A
	ds_read_b128 v[88:91], v10 offset:15232                    // 000000005554: D9FE3B80 5800000A
	ds_read_b128 v[92:95], v10 offset:15744                    // 00000000555C: D9FE3D80 5C00000A
	ds_read_b128 v[96:99], v10 offset:17408                    // 000000005564: D9FE4400 6000000A
	ds_read_b128 v[100:103], v10 offset:17920                  // 00000000556C: D9FE4600 6400000A
	ds_read_b32 v128, v21 offset:40704                         // 000000005574: D86C9F00 80000015
	ds_read_b32 v158, v21 offset:40960                         // 00000000557C: D86CA000 9E000015
	v_accvgpr_write_b32 a96, 0                                 // 000000005584: D3D94060 18000080
	v_mov_b32_e32 v160, 0                                      // 00000000558C: 7F400280
	v_accvgpr_write_b32 a97, 0                                 // 000000005590: D3D94061 18000080
	v_mov_b32_e32 v161, 0                                      // 000000005598: 7F420280
	v_accvgpr_write_b32 a98, 0                                 // 00000000559C: D3D94062 18000080
	v_mov_b32_e32 v162, 0                                      // 0000000055A4: 7F440280
	v_accvgpr_write_b32 a99, 0                                 // 0000000055A8: D3D94063 18000080
	v_mov_b32_e32 v163, 0                                      // 0000000055B0: 7F460280
	v_accvgpr_write_b32 a100, 0                                // 0000000055B4: D3D94064 18000080
	v_mov_b32_e32 v164, 0                                      // 0000000055BC: 7F480280
	v_accvgpr_write_b32 a101, 0                                // 0000000055C0: D3D94065 18000080
	v_mov_b32_e32 v165, 0                                      // 0000000055C8: 7F4A0280
	v_accvgpr_write_b32 a102, 0                                // 0000000055CC: D3D94066 18000080
	v_mov_b32_e32 v166, 0                                      // 0000000055D4: 7F4C0280
	v_accvgpr_write_b32 a103, 0                                // 0000000055D8: D3D94067 18000080
	v_mov_b32_e32 v167, 0                                      // 0000000055E0: 7F4E0280
	v_accvgpr_write_b32 a104, 0                                // 0000000055E4: D3D94068 18000080
	v_mov_b32_e32 v168, 0                                      // 0000000055EC: 7F500280
	v_accvgpr_write_b32 a105, 0                                // 0000000055F0: D3D94069 18000080
	v_mov_b32_e32 v169, 0                                      // 0000000055F8: 7F520280
	v_accvgpr_write_b32 a106, 0                                // 0000000055FC: D3D9406A 18000080
	v_mov_b32_e32 v170, 0                                      // 000000005604: 7F540280
	v_accvgpr_write_b32 a107, 0                                // 000000005608: D3D9406B 18000080
	v_mov_b32_e32 v171, 0                                      // 000000005610: 7F560280
	v_accvgpr_write_b32 a108, 0                                // 000000005614: D3D9406C 18000080
	v_mov_b32_e32 v172, 0                                      // 00000000561C: 7F580280
	v_accvgpr_write_b32 a109, 0                                // 000000005620: D3D9406D 18000080
	v_mov_b32_e32 v173, 0                                      // 000000005628: 7F5A0280
	v_accvgpr_write_b32 a110, 0                                // 00000000562C: D3D9406E 18000080
	v_mov_b32_e32 v174, 0                                      // 000000005634: 7F5C0280
	v_accvgpr_write_b32 a111, 0                                // 000000005638: D3D9406F 18000080
	v_mov_b32_e32 v175, 0                                      // 000000005640: 7F5E0280
	v_accvgpr_write_b32 a112, 0                                // 000000005644: D3D94070 18000080
	v_mov_b32_e32 v176, 0                                      // 00000000564C: 7F600280
	v_accvgpr_write_b32 a113, 0                                // 000000005650: D3D94071 18000080
	v_mov_b32_e32 v177, 0                                      // 000000005658: 7F620280
	v_accvgpr_write_b32 a114, 0                                // 00000000565C: D3D94072 18000080
	v_mov_b32_e32 v178, 0                                      // 000000005664: 7F640280
	v_accvgpr_write_b32 a115, 0                                // 000000005668: D3D94073 18000080
	v_mov_b32_e32 v179, 0                                      // 000000005670: 7F660280
	v_accvgpr_write_b32 a116, 0                                // 000000005674: D3D94074 18000080
	v_mov_b32_e32 v180, 0                                      // 00000000567C: 7F680280
	v_accvgpr_write_b32 a117, 0                                // 000000005680: D3D94075 18000080
	v_mov_b32_e32 v181, 0                                      // 000000005688: 7F6A0280
	v_accvgpr_write_b32 a118, 0                                // 00000000568C: D3D94076 18000080
	v_mov_b32_e32 v182, 0                                      // 000000005694: 7F6C0280
	v_accvgpr_write_b32 a119, 0                                // 000000005698: D3D94077 18000080
	v_mov_b32_e32 v183, 0                                      // 0000000056A0: 7F6E0280
	v_accvgpr_write_b32 a120, 0                                // 0000000056A4: D3D94078 18000080
	v_mov_b32_e32 v184, 0                                      // 0000000056AC: 7F700280
	v_accvgpr_write_b32 a121, 0                                // 0000000056B0: D3D94079 18000080
	v_mov_b32_e32 v185, 0                                      // 0000000056B8: 7F720280
	v_accvgpr_write_b32 a122, 0                                // 0000000056BC: D3D9407A 18000080
	v_mov_b32_e32 v186, 0                                      // 0000000056C4: 7F740280
	v_accvgpr_write_b32 a123, 0                                // 0000000056C8: D3D9407B 18000080
	v_mov_b32_e32 v187, 0                                      // 0000000056D0: 7F760280
	v_accvgpr_write_b32 a124, 0                                // 0000000056D4: D3D9407C 18000080
	v_mov_b32_e32 v188, 0                                      // 0000000056DC: 7F780280
	v_accvgpr_write_b32 a125, 0                                // 0000000056E0: D3D9407D 18000080
	v_mov_b32_e32 v189, 0                                      // 0000000056E8: 7F7A0280
	v_accvgpr_write_b32 a126, 0                                // 0000000056EC: D3D9407E 18000080
	v_mov_b32_e32 v190, 0                                      // 0000000056F4: 7F7C0280
	v_accvgpr_write_b32 a127, 0                                // 0000000056F8: D3D9407F 18000080
	v_mov_b32_e32 v191, 0                                      // 000000005700: 7F7E0280
	v_accvgpr_write_b32 a128, 0                                // 000000005704: D3D94080 18000080
	v_mov_b32_e32 v192, 0                                      // 00000000570C: 7F800280
	v_accvgpr_write_b32 a129, 0                                // 000000005710: D3D94081 18000080
	v_mov_b32_e32 v193, 0                                      // 000000005718: 7F820280
	v_accvgpr_write_b32 a130, 0                                // 00000000571C: D3D94082 18000080
	v_mov_b32_e32 v194, 0                                      // 000000005724: 7F840280
	v_accvgpr_write_b32 a131, 0                                // 000000005728: D3D94083 18000080
	v_mov_b32_e32 v195, 0                                      // 000000005730: 7F860280
	v_accvgpr_write_b32 a132, 0                                // 000000005734: D3D94084 18000080
	v_mov_b32_e32 v196, 0                                      // 00000000573C: 7F880280
	v_accvgpr_write_b32 a133, 0                                // 000000005740: D3D94085 18000080
	v_mov_b32_e32 v197, 0                                      // 000000005748: 7F8A0280
	v_accvgpr_write_b32 a134, 0                                // 00000000574C: D3D94086 18000080
	v_mov_b32_e32 v198, 0                                      // 000000005754: 7F8C0280
	v_accvgpr_write_b32 a135, 0                                // 000000005758: D3D94087 18000080
	v_mov_b32_e32 v199, 0                                      // 000000005760: 7F8E0280
	v_accvgpr_write_b32 a136, 0                                // 000000005764: D3D94088 18000080
	v_mov_b32_e32 v200, 0                                      // 00000000576C: 7F900280
	v_accvgpr_write_b32 a137, 0                                // 000000005770: D3D94089 18000080
	v_mov_b32_e32 v201, 0                                      // 000000005778: 7F920280
	v_accvgpr_write_b32 a138, 0                                // 00000000577C: D3D9408A 18000080
	v_mov_b32_e32 v202, 0                                      // 000000005784: 7F940280
	v_accvgpr_write_b32 a139, 0                                // 000000005788: D3D9408B 18000080
	v_mov_b32_e32 v203, 0                                      // 000000005790: 7F960280
	v_accvgpr_write_b32 a140, 0                                // 000000005794: D3D9408C 18000080
	v_mov_b32_e32 v204, 0                                      // 00000000579C: 7F980280
	v_accvgpr_write_b32 a141, 0                                // 0000000057A0: D3D9408D 18000080
	v_mov_b32_e32 v205, 0                                      // 0000000057A8: 7F9A0280
	v_accvgpr_write_b32 a142, 0                                // 0000000057AC: D3D9408E 18000080
	v_mov_b32_e32 v206, 0                                      // 0000000057B4: 7F9C0280
	v_accvgpr_write_b32 a143, 0                                // 0000000057B8: D3D9408F 18000080
	v_mov_b32_e32 v207, 0                                      // 0000000057C0: 7F9E0280
	v_mov_b32_e32 v144, 0                                      // 0000000057C4: 7F200280
	v_mov_b32_e32 v145, 0                                      // 0000000057C8: 7F220280
	v_mov_b32_e32 v146, 0                                      // 0000000057CC: 7F240280
	v_mov_b32_e32 v147, 0                                      // 0000000057D0: 7F260280
	v_mov_b32_e32 v148, 0                                      // 0000000057D4: 7F280280
	v_mov_b32_e32 v149, 0                                      // 0000000057D8: 7F2A0280
	v_mov_b32_e32 v150, 0                                      // 0000000057DC: 7F2C0280
	v_mov_b32_e32 v151, 0                                      // 0000000057E0: 7F2E0280
	v_mov_b32_e32 v152, 0                                      // 0000000057E4: 7F300280
	v_mov_b32_e32 v153, 0                                      // 0000000057E8: 7F320280
	v_mov_b32_e32 v154, 0                                      // 0000000057EC: 7F340280
	v_mov_b32_e32 v155, 0                                      // 0000000057F0: 7F360280
	v_mov_b32_e32 v132, 0                                      // 0000000057F4: 7F080280
	v_mov_b32_e32 v133, 0                                      // 0000000057F8: 7F0A0280
	v_mov_b32_e32 v134, 0                                      // 0000000057FC: 7F0C0280
	v_mov_b32_e32 v135, 0                                      // 000000005800: 7F0E0280
	v_mov_b32_e32 v136, 0                                      // 000000005804: 7F100280
	v_mov_b32_e32 v137, 0                                      // 000000005808: 7F120280
	v_mov_b32_e32 v138, 0                                      // 00000000580C: 7F140280
	v_mov_b32_e32 v139, 0                                      // 000000005810: 7F160280
	v_mov_b32_e32 v140, 0                                      // 000000005814: 7F180280
	v_mov_b32_e32 v141, 0                                      // 000000005818: 7F1A0280
	v_mov_b32_e32 v142, 0                                      // 00000000581C: 7F1C0280
	v_mov_b32_e32 v143, 0                                      // 000000005820: 7F1E0280
	s_waitcnt lgkmcnt(0)                                       // 000000005824: BF8CC07F
	s_barrier                                                  // 000000005828: BF8A0000
	buffer_load_dword v32, v1, s[8:11], 0 idxen                // 00000000582C: E0502000 80022001
	buffer_load_dword v33, v2, s[8:11], 0 idxen                // 000000005834: E0502000 80022102
	buffer_load_dword v34, v1, s[8:11], 0 idxen offset:128     // 00000000583C: E0502080 80022201
	buffer_load_dword v35, v2, s[8:11], 0 idxen offset:128     // 000000005844: E0502080 80022302
	v_mov_b32_e32 v36, 0                                       // 00000000584C: 7E480280
	s_mov_b64 exec, s[80:81]                                   // 000000005850: BEFE0150
	buffer_load_dword v36, v1, s[8:11], 0 idxen offset:256     // 000000005854: E0502100 80022401
	s_mov_b32 exec_lo, -1                                      // 00000000585C: BEFE00C1
	s_mov_b32 exec_hi, -1                                      // 000000005860: BEFF00C1
	v_mov_b32_e32 v37, 0                                       // 000000005864: 7E4A0280
	s_mov_b64 exec, s[80:81]                                   // 000000005868: BEFE0150
	buffer_load_dword v37, v2, s[8:11], 0 idxen offset:256     // 00000000586C: E0502100 80022502
	s_mov_b32 exec_lo, -1                                      // 000000005874: BEFE00C1
	s_mov_b32 exec_hi, -1                                      // 000000005878: BEFF00C1
	buffer_load_dword v44, v208, s[20:23], 0 idxen             // 00000000587C: E0502000 80052CD0
	buffer_load_dword v45, v209, s[20:23], 0 idxen             // 000000005884: E0502000 80052DD1
	buffer_load_dword v46, v208, s[20:23], 0 idxen offset:128  // 00000000588C: E0502080 80052ED0
	buffer_load_dword v47, v209, s[20:23], 0 idxen offset:128  // 000000005894: E0502080 80052FD1
	v_mov_b32_e32 v48, 0                                       // 00000000589C: 7E600280
	s_mov_b64 exec, s[80:81]                                   // 0000000058A0: BEFE0150
	buffer_load_dword v48, v208, s[20:23], 0 idxen offset:256  // 0000000058A4: E0502100 800530D0
	s_mov_b32 exec_lo, -1                                      // 0000000058AC: BEFE00C1
	s_mov_b32 exec_hi, -1                                      // 0000000058B0: BEFF00C1
	v_mov_b32_e32 v49, 0                                       // 0000000058B4: 7E620280
	s_mov_b64 exec, s[80:81]                                   // 0000000058B8: BEFE0150
	buffer_load_dword v49, v209, s[20:23], 0 idxen offset:256  // 0000000058BC: E0502100 800531D1
	s_mov_b32 exec_lo, -1                                      // 0000000058C4: BEFE00C1
	s_mov_b32 exec_hi, -1                                      // 0000000058C8: BEFF00C1
	buffer_load_dword v9, s[24:27], 0 idxen lds                // 0000000058CC: E0512000 80060009
	s_mov_b32 m0, s79                                          // 0000000058D4: BEFC004F
	v_add_u32_e32 v9, s69, v9                                  // 0000000058D8: 68121245
	v_add_u32_e32 v1, s68, v1                                  // 0000000058DC: 68020244
	v_add_u32_e32 v2, s68, v2                                  // 0000000058E0: 68040444
	v_add_u32_e32 v208, s100, v208                             // 0000000058E4: 69A1A064
	v_add_u32_e32 v209, s100, v209                             // 0000000058E8: 69A3A264
	v_mul_f32_e32 v128, s48, v128                              // 0000000058EC: 0B010030
	v_perm_b32 v68, v39, v38, s63                              // 0000000058F0: D1ED0044 00FE4D27
	v_perm_b32 v69, v39, v38, s64                              // 0000000058F8: D1ED0045 01024D27
	v_perm_b32 v70, v41, v40, s63                              // 000000005900: D1ED0046 00FE5129
	v_perm_b32 v71, v41, v40, s64                              // 000000005908: D1ED0047 01025129
	v_perm_b32 v72, v43, v42, s63                              // 000000005910: D1ED0048 00FE552B
	v_perm_b32 v73, v43, v42, s64                              // 000000005918: D1ED0049 0102552B
	v_perm_b32 v74, v51, v50, s63                              // 000000005920: D1ED004A 00FE6533
	v_perm_b32 v75, v51, v50, s64                              // 000000005928: D1ED004B 01026533
	v_perm_b32 v76, v53, v52, s63                              // 000000005930: D1ED004C 00FE6935
	v_perm_b32 v77, v53, v52, s64                              // 000000005938: D1ED004D 01026935
	v_perm_b32 v78, v55, v54, s63                              // 000000005940: D1ED004E 00FE6D37
	v_perm_b32 v79, v55, v54, s64                              // 000000005948: D1ED004F 01026D37
	v_mov_b32_dpp v131, v128 quad_perm:[3,3,3,3] row_mask:0xf bank_mask:0xf// 000000005950: 7F0602FA FF00FF80
	v_mov_b32_dpp v130, v128 quad_perm:[2,2,2,2] row_mask:0xf bank_mask:0xf// 000000005958: 7F0402FA FF00AA80
	v_mov_b32_dpp v129, v128 quad_perm:[1,1,1,1] row_mask:0xf bank_mask:0xf// 000000005960: 7F0202FA FF005580
	v_mov_b32_dpp v128, v128 quad_perm:[0,0,0,0] row_mask:0xf bank_mask:0xf// 000000005968: 7F0002FA FF000080
	s_waitcnt vmcnt(13)                                        // 000000005970: BF8C0F7D
	s_barrier                                                  // 000000005974: BF8A0000
	s_cmp_lt_i32 s46, 2                                        // 000000005978: BF04822E
	s_cbranch_scc0 label_0A34                                  // 00000000597C: BF8403D4

0000000000005980 <label_0660>:
	s_waitcnt lgkmcnt(0)                                       // 000000005980: BF8CC07F
	s_barrier                                                  // 000000005984: BF8A0000
	v_mfma_f32_16x16x16_f16 v[56:59], a[72:73], a[0:1], 0      // 000000005988: D3CD0038 1A020148
	ds_write_b32 v11, v50 offset:13056                         // 000000005990: D81A3300 0000320B
	ds_write_b32 v11, v51 offset:14112                         // 000000005998: D81A3720 0000330B
	ds_write_b32 v11, v52 offset:15232                         // 0000000059A0: D81A3B80 0000340B
	v_mfma_f32_16x16x16_f16 v[56:59], a[74:75], a[2:3], v[56:59]// 0000000059A8: D3CD0038 1CE2054A
	v_mul_f32_e32 v132, s47, v132                              // 0000000059B0: 0B09082F
	v_mul_f32_e32 v133, s47, v133                              // 0000000059B4: 0B0B0A2F
	v_mul_f32_e32 v134, s47, v134                              // 0000000059B8: 0B0D0C2F
	v_mul_f32_e32 v135, s47, v135                              // 0000000059BC: 0B0F0E2F
	v_mfma_f32_16x16x16_f16 v[56:59], a[76:77], a[4:5], v[56:59]// 0000000059C0: D3CD0038 1CE2094C
	ds_write_b32 v11, v53 offset:16288                         // 0000000059C8: D81A3FA0 0000350B
	ds_write_b32 v11, v54 offset:17408                         // 0000000059D0: D81A4400 0000360B
	ds_write_b32 v11, v55 offset:18464                         // 0000000059D8: D81A4820 0000370B
	v_mfma_f32_16x16x16_f16 v[56:59], a[78:79], a[6:7], v[56:59]// 0000000059E0: D3CD0038 1CE20D4E
	v_mul_f32_e32 v136, s47, v136                              // 0000000059E8: 0B11102F
	v_mul_f32_e32 v137, s47, v137                              // 0000000059EC: 0B13122F
	v_mul_f32_e32 v138, s47, v138                              // 0000000059F0: 0B15142F
	v_mul_f32_e32 v139, s47, v139                              // 0000000059F4: 0B17162F
	v_mfma_f32_16x16x16_f16 v[56:59], a[80:81], a[8:9], v[56:59]// 0000000059F8: D3CD0038 1CE21150
	ds_write_b64 v20, v[132:133] offset:28416                  // 000000005A00: D89A6F00 00008414
	ds_write_b64 v20, v[134:135] offset:28928                  // 000000005A08: D89A7100 00008614
	v_mfma_f32_16x16x16_f16 v[56:59], a[82:83], a[10:11], v[56:59]// 000000005A10: D3CD0038 1CE21552
	v_mul_f32_e32 v140, s47, v140                              // 000000005A18: 0B19182F
	v_mul_f32_e32 v141, s47, v141                              // 000000005A1C: 0B1B1A2F
	v_mul_f32_e32 v142, s47, v142                              // 000000005A20: 0B1D1C2F
	v_mul_f32_e32 v143, s47, v143                              // 000000005A24: 0B1F1E2F
	v_mfma_f32_16x16x16_f16 v[56:59], a[84:85], a[12:13], v[56:59]// 000000005A28: D3CD0038 1CE21954
	ds_write_b64 v20, v[136:137] offset:29440                  // 000000005A30: D89A7300 00008814
	ds_write_b64 v20, v[138:139] offset:29952                  // 000000005A38: D89A7500 00008A14
	v_mfma_f32_16x16x16_f16 v[56:59], a[86:87], a[14:15], v[56:59]// 000000005A40: D3CD0038 1CE21D56
	ds_write_b64 v20, v[140:141] offset:30464                  // 000000005A48: D89A7700 00008C14
	ds_write_b64 v20, v[142:143] offset:30976                  // 000000005A50: D89A7900 00008E14
	v_mfma_f32_16x16x16_f16 v[56:59], a[88:89], a[16:17], v[56:59]// 000000005A58: D3CD0038 1CE22158
	ds_read_b128 v[104:107], v12 offset:19584                  // 000000005A60: D9FE4C80 6800000C
	v_mfma_f32_16x16x16_f16 v[56:59], a[90:91], a[18:19], v[56:59]// 000000005A68: D3CD0038 1CE2255A
	ds_read_b128 v[108:111], v12 offset:20096                  // 000000005A70: D9FE4E80 6C00000C
	v_mfma_f32_16x16x16_f16 v[56:59], a[92:93], a[20:21], v[56:59]// 000000005A78: D3CD0038 1CE2295C
	ds_read_b128 v[112:115], v12 offset:21760                  // 000000005A80: D9FE5500 7000000C
	ds_read_b128 v[116:119], v12 offset:22272                  // 000000005A88: D9FE5700 7400000C
	v_mfma_f32_16x16x16_f16 v[56:59], a[94:95], a[22:23], v[56:59]// 000000005A90: D3CD0038 1CE22D5E
	ds_read_b128 v[120:123], v12 offset:23936                  // 000000005A98: D9FE5D80 7800000C
	ds_read_b128 v[124:127], v12 offset:24448                  // 000000005AA0: D9FE5F80 7C00000C
	s_cmp_eq_i32 s44, 0                                        // 000000005AA8: BF00802C
	s_cbranch_scc1 label_06D2                                  // 000000005AAC: BF850026
	s_cmp_lt_i32 s74, 4                                        // 000000005AB0: BF04844A
	s_cbranch_scc0 label_06C1                                  // 000000005AB4: BF840013
	s_lshl_b32 s60, s74, 4                                     // 000000005AB8: 8E3C844A
	v_sub_i32 v28, v210, s60                                   // 000000005ABC: D29D001C 000079D2
	v_cmp_gt_i32_e64 s[60:61], v28, 0                          // 000000005AC4: D0C4003C 0001011C
	v_cmp_gt_i32_e64 s[70:71], v28, 1                          // 000000005ACC: D0C40046 0001031C
	v_cndmask_b32_e64 v56, v56, v159, s[60:61]                 // 000000005AD4: D1000038 00F33F38
	v_cndmask_b32_e64 v57, v57, v159, s[70:71]                 // 000000005ADC: D1000039 011B3F39
	v_cmp_gt_i32_e64 s[60:61], v28, 2                          // 000000005AE4: D0C4003C 0001051C
	v_cmp_gt_i32_e64 s[70:71], v28, 3                          // 000000005AEC: D0C40046 0001071C
	v_cndmask_b32_e64 v58, v58, v159, s[60:61]                 // 000000005AF4: D100003A 00F33F3A
	v_cndmask_b32_e64 v59, v59, v159, s[70:71]                 // 000000005AFC: D100003B 011B3F3B

0000000000005b04 <label_06C1>:
	s_cmp_lt_i32 s84, 64                                       // 000000005B04: BF04C054
	s_cbranch_scc0 label_06D2                                  // 000000005B08: BF84000F
	v_and_b32_e32 v28, 15, v0                                  // 000000005B0C: 2638008F
	v_mul_i32_i24_e64 v29, s46, 16                             // 000000005B10: D106001D 0001202E
	v_add_u32_e32 v28, v28, v29                                // 000000005B18: 68383B1C
	v_cmp_lt_u32_e64 s[60:61], v28, s84                        // 000000005B1C: D0C9003C 0000A91C
	s_nop 1                                                    // 000000005B24: BF800001
	v_cndmask_b32_e64 v56, v159, v56, s[60:61]                 // 000000005B28: D1000038 00F2719F
	v_cndmask_b32_e64 v57, v159, v57, s[60:61]                 // 000000005B30: D1000039 00F2739F
	v_cndmask_b32_e64 v58, v159, v58, s[60:61]                 // 000000005B38: D100003A 00F2759F
	v_cndmask_b32_e64 v59, v159, v59, s[60:61]                 // 000000005B40: D100003B 00F2779F

0000000000005b48 <label_06D2>:
	s_addk_i32 s74, 0x1                                        // 000000005B48: B74A0001
	s_waitcnt lgkmcnt(6)                                       // 000000005B4C: BF8CC67F
	s_barrier                                                  // 000000005B50: BF8A0000
	v_mfma_f32_16x16x16_f16 v[64:67], v[80:81], a[48:49], 0    // 000000005B54: D3CD0040 12026150
	ds_read_b128 a[72:75], v12 offset:6528                     // 000000005B5C: DBFE1980 4800000C
	ds_read_b128 a[76:79], v12 offset:7040                     // 000000005B64: DBFE1B80 4C00000C
	ds_write_b32 v11, v38                                      // 000000005B6C: D81A0000 0000260B
	ds_write_b32 v11, v39 offset:1056                          // 000000005B74: D81A0420 0000270B
	v_mfma_f32_16x16x16_f16 v[64:67], v[82:83], a[50:51], v[64:67]// 000000005B7C: D3CD0040 15026552
	v_fma_f32 v56, v56, s57, -v128                             // 000000005B84: D1CB0038 86007338
	v_fma_f32 v57, v57, s57, -v129                             // 000000005B8C: D1CB0039 86047339
	v_fma_f32 v58, v58, s57, -v130                             // 000000005B94: D1CB003A 8608733A
	v_fma_f32 v59, v59, s57, -v131                             // 000000005B9C: D1CB003B 860C733B
	v_mfma_f32_16x16x16_f16 v[64:67], v[84:85], a[52:53], v[64:67]// 000000005BA4: D3CD0040 15026954
	ds_read_b128 a[80:83], v12 offset:8704                     // 000000005BAC: DBFE2200 5000000C
	ds_read_b128 a[84:87], v12 offset:9216                     // 000000005BB4: DBFE2400 5400000C
	ds_write_b32 v11, v40 offset:2176                          // 000000005BBC: D81A0880 0000280B
	v_mfma_f32_16x16x16_f16 v[64:67], v[86:87], a[54:55], v[64:67]// 000000005BC4: D3CD0040 15026D56
	v_exp_f32_e32 v56, v56                                     // 000000005BCC: 7E704138
	v_mfma_f32_16x16x16_f16 v[64:67], v[88:89], a[56:57], v[64:67]// 000000005BD0: D3CD0040 15027158
	ds_read_b128 a[88:91], v12 offset:10880                    // 000000005BD8: DBFE2A80 5800000C
	ds_read_b128 a[92:95], v12 offset:11392                    // 000000005BE0: DBFE2C80 5C00000C
	ds_write_b32 v11, v41 offset:3232                          // 000000005BE8: D81A0CA0 0000290B
	v_mfma_f32_16x16x16_f16 v[64:67], v[90:91], a[58:59], v[64:67]// 000000005BF0: D3CD0040 1502755A
	v_exp_f32_e32 v57, v57                                     // 000000005BF8: 7E724139
	v_mfma_f32_16x16x16_f16 v[64:67], v[92:93], a[60:61], v[64:67]// 000000005BFC: D3CD0040 1502795C
	ds_read_b64 v[144:145], v19 offset:28416                   // 000000005C04: D8EC6F00 90000013
	ds_read_b64 v[146:147], v19 offset:30464                   // 000000005C0C: D8EC7700 92000013
	ds_read_b64 v[148:149], v19 offset:32512                   // 000000005C14: D8EC7F00 94000013
	ds_write_b32 v11, v42 offset:4352                          // 000000005C1C: D81A1100 00002A0B
	v_mfma_f32_16x16x16_f16 v[64:67], v[94:95], a[62:63], v[64:67]// 000000005C24: D3CD0040 15027D5E
	v_exp_f32_e32 v58, v58                                     // 000000005C2C: 7E74413A
	v_mfma_f32_16x16x16_f16 v[64:67], v[96:97], a[64:65], v[64:67]// 000000005C30: D3CD0040 15028160
	ds_read_b64 v[150:151], v19 offset:34560                   // 000000005C38: D8EC8700 96000013
	ds_read_b64 v[152:153], v19 offset:36608                   // 000000005C40: D8EC8F00 98000013
	ds_read_b64 v[154:155], v19 offset:38656                   // 000000005C48: D8EC9700 9A000013
	ds_write_b32 v11, v43 offset:5408                          // 000000005C50: D81A1520 00002B0B
	v_mfma_f32_16x16x16_f16 v[64:67], v[98:99], a[66:67], v[64:67]// 000000005C58: D3CD0040 15028562
	v_exp_f32_e32 v59, v59                                     // 000000005C60: 7E76413B
	v_mfma_f32_16x16x16_f16 v[64:67], v[100:101], a[68:69], v[64:67]// 000000005C64: D3CD0040 15028964
	v_cvt_pkrtz_f16_f32 v156, v56, v57                         // 000000005C6C: D296009C 00027338
	v_mfma_f32_16x16x16_f16 v[64:67], v[102:103], a[70:71], v[64:67]// 000000005C74: D3CD0040 15028D66
	v_cvt_pkrtz_f16_f32 v157, v58, v59                         // 000000005C7C: D296009D 0002773A
	v_add_u32_e32 v7, s66, v7                                  // 000000005C84: 680E0E42
	v_add_u32_e32 v8, s66, v8                                  // 000000005C88: 68101042
	s_waitcnt lgkmcnt(0)                                       // 000000005C8C: BF8CC07F
	s_barrier                                                  // 000000005C90: BF8A0000
	v_mfma_f32_16x16x16_f16 v[160:163], v[104:105], v[156:157], v[160:163]// 000000005C94: D3CD00A0 06833968
	v_subrev_f32_dpp v64, v158, v64 quad_perm:[0,0,0,0] row_mask:0xf bank_mask:0xf// 000000005C9C: 068080FA FF00009E
	v_subrev_f32_dpp v65, v158, v65 quad_perm:[1,1,1,1] row_mask:0xf bank_mask:0xf// 000000005CA4: 068282FA FF00559E
	buffer_atomic_add_f32 v144, v7, s[32:35], 0 offen          // 000000005CAC: E1341000 80089007
	v_mfma_f32_16x16x16_f16 v[164:167], v[106:107], v[156:157], v[164:167]// 000000005CB4: D3CD00A4 0693396A
	v_subrev_f32_dpp v66, v158, v66 quad_perm:[2,2,2,2] row_mask:0xf bank_mask:0xf// 000000005CBC: 068484FA FF00AA9E
	v_subrev_f32_dpp v67, v158, v67 quad_perm:[3,3,3,3] row_mask:0xf bank_mask:0xf// 000000005CC4: 068686FA FF00FF9E
	buffer_atomic_add_f32 v145, v8, s[32:35], 0 offen          // 000000005CCC: E1341000 80089108
	v_mfma_f32_16x16x16_f16 v[168:171], v[108:109], v[156:157], v[168:171]// 000000005CD4: D3CD00A8 06A3396C
	v_mul_f32_e32 v64, v56, v64                                // 000000005CDC: 0A808138
	v_mul_f32_e32 v65, v57, v65                                // 000000005CE0: 0A828339
	buffer_atomic_add_f32 v146, v7, s[32:35], 0 offen offset:128// 000000005CE4: E1341080 80089207
	v_mfma_f32_16x16x16_f16 v[172:175], v[110:111], v[156:157], v[172:175]// 000000005CEC: D3CD00AC 06B3396E
	v_mul_f32_e32 v66, v58, v66                                // 000000005CF4: 0A84853A
	v_mul_f32_e32 v67, v59, v67                                // 000000005CF8: 0A86873B
	buffer_atomic_add_f32 v147, v8, s[32:35], 0 offen offset:128// 000000005CFC: E1341080 80089308
	v_mfma_f32_16x16x16_f16 v[176:179], v[112:113], v[156:157], v[176:179]// 000000005D04: D3CD00B0 06C33970
	v_cvt_pkrtz_f16_f32 v64, v64, v65                          // 000000005D0C: D2960040 00028340
	v_mfma_f32_16x16x16_f16 v[180:183], v[114:115], v[156:157], v[180:183]// 000000005D14: D3CD00B4 06D33972
	v_cvt_pkrtz_f16_f32 v65, v66, v67                          // 000000005D1C: D2960041 00028742
	v_mfma_f32_16x16x16_f16 v[184:187], v[116:117], v[156:157], v[184:187]// 000000005D24: D3CD00B8 06E33974
	v_mov_b32_dpp v16, v64 quad_perm:[1,0,3,2] row_mask:0xf bank_mask:0xf// 000000005D2C: 7E2002FA FF00B140
	v_perm_b32 v56, v16, v64, v15                              // 000000005D34: D1ED0038 043E8110
	buffer_atomic_add_f32 v148, v7, s[32:35], 0 offen offset:256// 000000005D3C: E1341100 80089407
	v_mfma_f32_16x16x16_f16 v[188:191], v[118:119], v[156:157], v[188:191]// 000000005D44: D3CD00BC 06F33976
	v_mov_b32_dpp v16, v65 quad_perm:[1,0,3,2] row_mask:0xf bank_mask:0xf// 000000005D4C: 7E2002FA FF00B141
	v_perm_b32 v57, v16, v65, v15                              // 000000005D54: D1ED0039 043E8310
	buffer_atomic_add_f32 v149, v8, s[32:35], 0 offen offset:256// 000000005D5C: E1341100 80089508
	v_mfma_f32_16x16x16_f16 v[192:195], v[120:121], v[156:157], v[192:195]// 000000005D64: D3CD00C0 07033978
	ds_write_b32 v13, v68 offset:6528                          // 000000005D6C: D81A1980 0000440D
	ds_write_b32 v13, v69 offset:7584                          // 000000005D74: D81A1DA0 0000450D
	v_mfma_f32_16x16x16_f16 v[196:199], v[122:123], v[156:157], v[196:199]// 000000005D7C: D3CD00C4 0713397A
	ds_write_b32 v18, v56 offset:26112                         // 000000005D84: D81A6600 00003812
	ds_write_b32 v18, v57 offset:26656                         // 000000005D8C: D81A6820 00003912
	v_mfma_f32_16x16x16_f16 v[200:203], v[124:125], v[156:157], v[200:203]// 000000005D94: D3CD00C8 0723397C
	ds_write_b32 v13, v70 offset:8704                          // 000000005D9C: D81A2200 0000460D
	ds_write_b32 v13, v71 offset:9760                          // 000000005DA4: D81A2620 0000470D
	v_mfma_f32_16x16x16_f16 v[204:207], v[126:127], v[156:157], v[204:207]// 000000005DAC: D3CD00CC 0733397E
	ds_write_b32 v13, v72 offset:10880                         // 000000005DB4: D81A2A80 0000480D
	ds_write_b32 v13, v73 offset:11936                         // 000000005DBC: D81A2EA0 0000490D
	s_barrier                                                  // 000000005DC4: BF8A0000
	v_mfma_f32_16x16x16_f16 a[96:99], a[72:73], v[64:65], a[96:99]// 000000005DC8: D3CD8060 0D828148
	buffer_atomic_add_f32 v150, v7, s[32:35], 0 offen offset:384// 000000005DD0: E1341180 80089607
	buffer_atomic_add_f32 v151, v8, s[32:35], 0 offen offset:384// 000000005DD8: E1341180 80089708
	v_mfma_f32_16x16x16_f16 a[100:103], a[74:75], v[64:65], a[100:103]// 000000005DE0: D3CD8064 0D92814A
	ds_read_b32 v128, v21 offset:41216                         // 000000005DE8: D86CA100 80000015
	ds_read_b32 v158, v21 offset:41472                         // 000000005DF0: D86CA200 9E000015
	v_mfma_f32_16x16x16_f16 a[104:107], a[76:77], v[64:65], a[104:107]// 000000005DF8: D3CD8068 0DA2814C
	s_waitcnt lgkmcnt(6)                                       // 000000005E00: BF8CC67F
	s_barrier                                                  // 000000005E04: BF8A0000
	v_mfma_f32_16x16x16_f16 a[108:111], a[78:79], v[64:65], a[108:111]// 000000005E08: D3CD806C 0DB2814E
	ds_read_b128 v[56:59], v17 offset:26112                    // 000000005E10: D9FE6600 38000011
	v_mfma_f32_16x16x16_f16 a[112:115], a[80:81], v[64:65], a[112:115]// 000000005E18: D3CD8070 0DC28150
	s_mov_b64 exec, s[82:83]                                   // 000000005E20: BEFE0152
	buffer_atomic_add_f32 v152, v7, s[32:35], 0 offen offset:512// 000000005E24: E1341200 80089807
	s_mov_b32 exec_lo, -1                                      // 000000005E2C: BEFE00C1
	s_mov_b32 exec_hi, -1                                      // 000000005E30: BEFF00C1
	v_mfma_f32_16x16x16_f16 a[116:119], a[82:83], v[64:65], a[116:119]// 000000005E34: D3CD8074 0DD28152
	ds_read_b128 v[60:63], v17 offset:27264                    // 000000005E3C: D9FE6A80 3C000011
	v_mfma_f32_16x16x16_f16 a[120:123], a[84:85], v[64:65], a[120:123]// 000000005E44: D3CD8078 0DE28154
	s_mov_b64 exec, s[82:83]                                   // 000000005E4C: BEFE0152
	buffer_atomic_add_f32 v153, v8, s[32:35], 0 offen offset:512// 000000005E50: E1341200 80089908
	s_mov_b32 exec_lo, -1                                      // 000000005E58: BEFE00C1
	s_mov_b32 exec_hi, -1                                      // 000000005E5C: BEFF00C1
	v_mfma_f32_16x16x16_f16 a[124:127], a[86:87], v[64:65], a[124:127]// 000000005E60: D3CD807C 0DF28156
	ds_write_b32 v13, v74 offset:19584                         // 000000005E68: D81A4C80 00004A0D
	ds_write_b32 v13, v75 offset:20640                         // 000000005E70: D81A50A0 00004B0D
	v_mfma_f32_16x16x16_f16 a[128:131], a[88:89], v[64:65], a[128:131]// 000000005E78: D3CD8080 0E028158
	s_mov_b64 exec, s[92:93]                                   // 000000005E80: BEFE015C
	buffer_atomic_add_f32 v154, v7, s[32:35], 0 offen offset:640// 000000005E84: E1341280 80089A07
	s_mov_b32 exec_lo, -1                                      // 000000005E8C: BEFE00C1
	s_mov_b32 exec_hi, -1                                      // 000000005E90: BEFF00C1
	v_mfma_f32_16x16x16_f16 a[132:135], a[90:91], v[64:65], a[132:135]// 000000005E94: D3CD8084 0E12815A
	ds_write_b32 v13, v76 offset:21760                         // 000000005E9C: D81A5500 00004C0D
	ds_write_b32 v13, v77 offset:22816                         // 000000005EA4: D81A5920 00004D0D
	v_mfma_f32_16x16x16_f16 a[136:139], a[92:93], v[64:65], a[136:139]// 000000005EAC: D3CD8088 0E22815C
	s_mov_b64 exec, s[92:93]                                   // 000000005EB4: BEFE015C
	buffer_atomic_add_f32 v155, v8, s[32:35], 0 offen offset:640// 000000005EB8: E1341280 80089B08
	s_mov_b32 exec_lo, -1                                      // 000000005EC0: BEFE00C1
	s_mov_b32 exec_hi, -1                                      // 000000005EC4: BEFF00C1
	v_mfma_f32_16x16x16_f16 a[140:143], a[94:95], v[64:65], a[140:143]// 000000005EC8: D3CD808C 0E32815E
	ds_write_b32 v13, v78 offset:23936                         // 000000005ED0: D81A5D80 00004E0D
	ds_write_b32 v13, v79 offset:24992                         // 000000005ED8: D81A61A0 00004F0D
	s_waitcnt vmcnt(12) lgkmcnt(6)                             // 000000005EE0: BF8C067C
	s_barrier                                                  // 000000005EE4: BF8A0000
	v_mfma_f32_16x16x16_f16 v[132:135], v[56:57], a[24:25], 0  // 000000005EE8: D3CD0084 12023138
	v_mul_f32_e32 v128, s48, v128                              // 000000005EF0: 0B010030
	v_perm_b32 v68, v33, v32, s63                              // 000000005EF4: D1ED0044 00FE4121
	v_perm_b32 v69, v33, v32, s64                              // 000000005EFC: D1ED0045 01024121
	v_perm_b32 v70, v35, v34, s63                              // 000000005F04: D1ED0046 00FE4523
	v_mfma_f32_16x16x16_f16 v[132:135], v[58:59], a[30:31], v[132:135]// 000000005F0C: D3CD0084 16123D3A
	ds_read_b128 a[72:75], v10                                 // 000000005F14: DBFE0000 4800000A
	ds_read_b128 a[76:79], v10 offset:512                      // 000000005F1C: DBFE0200 4C00000A
	ds_read_b128 a[80:83], v10 offset:2176                     // 000000005F24: DBFE0880 5000000A
	buffer_load_dword v38, v1, s[8:11], 0 idxen                // 000000005F2C: E0502000 80022601
	buffer_load_dword v39, v2, s[8:11], 0 idxen                // 000000005F34: E0502000 80022702
	v_mfma_f32_16x16x16_f16 v[132:135], v[60:61], a[36:37], v[132:135]// 000000005F3C: D3CD0084 1612493C
	v_perm_b32 v71, v35, v34, s64                              // 000000005F44: D1ED0047 01024523
	v_perm_b32 v72, v37, v36, s63                              // 000000005F4C: D1ED0048 00FE4925
	v_perm_b32 v73, v37, v36, s64                              // 000000005F54: D1ED0049 01024925
	v_mfma_f32_16x16x16_f16 v[132:135], v[62:63], a[42:43], v[132:135]// 000000005F5C: D3CD0084 1612553E
	ds_read_b128 a[84:87], v10 offset:2688                     // 000000005F64: DBFE0A80 5400000A
	ds_read_b128 a[88:91], v10 offset:4352                     // 000000005F6C: DBFE1100 5800000A
	ds_read_b128 a[92:95], v10 offset:4864                     // 000000005F74: DBFE1300 5C00000A
	buffer_load_dword v40, v1, s[8:11], 0 idxen offset:128     // 000000005F7C: E0502080 80022801
	buffer_load_dword v41, v2, s[8:11], 0 idxen offset:128     // 000000005F84: E0502080 80022902
	v_mfma_f32_16x16x16_f16 v[136:139], v[56:57], a[26:27], 0  // 000000005F8C: D3CD0088 12023538
	v_perm_b32 v74, v45, v44, s63                              // 000000005F94: D1ED004A 00FE592D
	v_perm_b32 v75, v45, v44, s64                              // 000000005F9C: D1ED004B 0102592D
	v_perm_b32 v76, v47, v46, s63                              // 000000005FA4: D1ED004C 00FE5D2F
	v_mov_b32_dpp v131, v128 quad_perm:[3,3,3,3] row_mask:0xf bank_mask:0xf// 000000005FAC: 7F0602FA FF00FF80
	v_mov_b32_dpp v130, v128 quad_perm:[2,2,2,2] row_mask:0xf bank_mask:0xf// 000000005FB4: 7F0402FA FF00AA80
	v_mfma_f32_16x16x16_f16 v[136:139], v[58:59], a[32:33], v[136:139]// 000000005FBC: D3CD0088 1622413A
	ds_read_b128 v[80:83], v10 offset:13056                    // 000000005FC4: D9FE3300 5000000A
	ds_read_b128 v[84:87], v10 offset:13568                    // 000000005FCC: D9FE3500 5400000A
	ds_read_b128 v[88:91], v10 offset:15232                    // 000000005FD4: D9FE3B80 5800000A
	buffer_load_dword v50, v208, s[20:23], 0 idxen             // 000000005FDC: E0502000 800532D0
	buffer_load_dword v51, v209, s[20:23], 0 idxen             // 000000005FE4: E0502000 800533D1
	v_mfma_f32_16x16x16_f16 v[136:139], v[60:61], a[38:39], v[136:139]// 000000005FEC: D3CD0088 16224D3C
	v_perm_b32 v77, v47, v46, s64                              // 000000005FF4: D1ED004D 01025D2F
	v_perm_b32 v78, v49, v48, s63                              // 000000005FFC: D1ED004E 00FE6131
	v_perm_b32 v79, v49, v48, s64                              // 000000006004: D1ED004F 01026131
	v_mov_b32_dpp v129, v128 quad_perm:[1,1,1,1] row_mask:0xf bank_mask:0xf// 00000000600C: 7F0202FA FF005580
	v_mov_b32_dpp v128, v128 quad_perm:[0,0,0,0] row_mask:0xf bank_mask:0xf// 000000006014: 7F0002FA FF000080
	v_mfma_f32_16x16x16_f16 v[136:139], v[62:63], a[44:45], v[136:139]// 00000000601C: D3CD0088 1622593E
	ds_read_b128 v[92:95], v10 offset:15744                    // 000000006024: D9FE3D80 5C00000A
	ds_read_b128 v[96:99], v10 offset:17408                    // 00000000602C: D9FE4400 6000000A
	ds_read_b128 v[100:103], v10 offset:17920                  // 000000006034: D9FE4600 6400000A
	buffer_load_dword v52, v208, s[20:23], 0 idxen offset:128  // 00000000603C: E0502080 800534D0
	buffer_load_dword v53, v209, s[20:23], 0 idxen offset:128  // 000000006044: E0502080 800535D1
	v_mfma_f32_16x16x16_f16 v[140:143], v[56:57], a[28:29], 0  // 00000000604C: D3CD008C 12023938
	s_add_u32 s60, 64, s59                                     // 000000006054: 803C3BC0
	s_cmp_lt_u32 s60, s58                                      // 000000006058: BF0A3A3C
	s_cselect_b32 s68, s68, 0                                  // 00000000605C: 85448044
	s_cselect_b32 s100, s100, 0                                // 000000006060: 85648064
	s_cselect_b32 s69, s69, 0                                  // 000000006064: 85458045
	v_mfma_f32_16x16x16_f16 v[140:143], v[58:59], a[34:35], v[140:143]// 000000006068: D3CD008C 1632453A
	buffer_load_dword v9, s[24:27], 0 idxen lds                // 000000006070: E0512000 80060009
	v_mov_b32_e32 v42, 0                                       // 000000006078: 7E540280
	s_mov_b64 exec, s[80:81]                                   // 00000000607C: BEFE0150
	buffer_load_dword v42, v1, s[8:11], 0 idxen offset:256     // 000000006080: E0502100 80022A01
	s_mov_b32 exec_lo, -1                                      // 000000006088: BEFE00C1
	s_mov_b32 exec_hi, -1                                      // 00000000608C: BEFF00C1
	v_mov_b32_e32 v43, 0                                       // 000000006090: 7E560280
	s_mov_b64 exec, s[80:81]                                   // 000000006094: BEFE0150
	buffer_load_dword v43, v2, s[8:11], 0 idxen offset:256     // 000000006098: E0502100 80022B02
	s_mov_b32 exec_lo, -1                                      // 0000000060A0: BEFE00C1
	s_mov_b32 exec_hi, -1                                      // 0000000060A4: BEFF00C1
	v_mfma_f32_16x16x16_f16 v[140:143], v[60:61], a[40:41], v[140:143]// 0000000060A8: D3CD008C 1632513C
	v_mov_b32_e32 v54, 0                                       // 0000000060B0: 7E6C0280
	s_mov_b64 exec, s[80:81]                                   // 0000000060B4: BEFE0150
	buffer_load_dword v54, v208, s[20:23], 0 idxen offset:256  // 0000000060B8: E0502100 800536D0
	s_mov_b32 exec_lo, -1                                      // 0000000060C0: BEFE00C1
	s_mov_b32 exec_hi, -1                                      // 0000000060C4: BEFF00C1
	v_mov_b32_e32 v55, 0                                       // 0000000060C8: 7E6E0280
	s_mov_b64 exec, s[80:81]                                   // 0000000060CC: BEFE0150
	buffer_load_dword v55, v209, s[20:23], 0 idxen offset:256  // 0000000060D0: E0502100 800537D1
	s_mov_b32 exec_lo, -1                                      // 0000000060D8: BEFE00C1
	s_mov_b32 exec_hi, -1                                      // 0000000060DC: BEFF00C1
	v_add_u32_e32 v1, s68, v1                                  // 0000000060E0: 68020244
	v_add_u32_e32 v2, s68, v2                                  // 0000000060E4: 68040444
	v_add_u32_e32 v208, s100, v208                             // 0000000060E8: 69A1A064
	v_add_u32_e32 v209, s100, v209                             // 0000000060EC: 69A3A264
	s_mov_b32 m0, s78                                          // 0000000060F0: BEFC004E
	v_add_u32_e32 v9, s69, v9                                  // 0000000060F4: 68121245
	v_mfma_f32_16x16x16_f16 v[140:143], v[62:63], a[46:47], v[140:143]// 0000000060F8: D3CD008C 16325D3E
	s_cmp_ge_u32 s59, s73                                      // 000000006100: BF09493B
	s_cselect_b32 s66, s67, s66                                // 000000006104: 85424243
	s_addk_i32 s59, 0x10                                       // 000000006108: B73B0010
	s_nop 0                                                    // 00000000610C: BF800000
	s_cmp_lt_i32 s59, s58                                      // 000000006110: BF043A3B
	s_cbranch_scc0 label_0A2D                                  // 000000006114: BF8401E7
	s_waitcnt lgkmcnt(0)                                       // 000000006118: BF8CC07F
	s_barrier                                                  // 00000000611C: BF8A0000
	v_mfma_f32_16x16x16_f16 v[56:59], a[72:73], a[0:1], 0      // 000000006120: D3CD0038 1A020148
	ds_write_b32 v11, v44 offset:13056                         // 000000006128: D81A3300 00002C0B
	ds_write_b32 v11, v45 offset:14112                         // 000000006130: D81A3720 00002D0B
	ds_write_b32 v11, v46 offset:15232                         // 000000006138: D81A3B80 00002E0B
	v_mfma_f32_16x16x16_f16 v[56:59], a[74:75], a[2:3], v[56:59]// 000000006140: D3CD0038 1CE2054A
	v_mul_f32_e32 v132, s47, v132                              // 000000006148: 0B09082F
	v_mul_f32_e32 v133, s47, v133                              // 00000000614C: 0B0B0A2F
	v_mul_f32_e32 v134, s47, v134                              // 000000006150: 0B0D0C2F
	v_mul_f32_e32 v135, s47, v135                              // 000000006154: 0B0F0E2F
	v_mfma_f32_16x16x16_f16 v[56:59], a[76:77], a[4:5], v[56:59]// 000000006158: D3CD0038 1CE2094C
	ds_write_b32 v11, v47 offset:16288                         // 000000006160: D81A3FA0 00002F0B
	ds_write_b32 v11, v48 offset:17408                         // 000000006168: D81A4400 0000300B
	ds_write_b32 v11, v49 offset:18464                         // 000000006170: D81A4820 0000310B
	v_mfma_f32_16x16x16_f16 v[56:59], a[78:79], a[6:7], v[56:59]// 000000006178: D3CD0038 1CE20D4E
	v_mul_f32_e32 v136, s47, v136                              // 000000006180: 0B11102F
	v_mul_f32_e32 v137, s47, v137                              // 000000006184: 0B13122F
	v_mul_f32_e32 v138, s47, v138                              // 000000006188: 0B15142F
	v_mul_f32_e32 v139, s47, v139                              // 00000000618C: 0B17162F
	v_mfma_f32_16x16x16_f16 v[56:59], a[80:81], a[8:9], v[56:59]// 000000006190: D3CD0038 1CE21150
	ds_write_b64 v20, v[132:133] offset:28416                  // 000000006198: D89A6F00 00008414
	ds_write_b64 v20, v[134:135] offset:28928                  // 0000000061A0: D89A7100 00008614
	v_mfma_f32_16x16x16_f16 v[56:59], a[82:83], a[10:11], v[56:59]// 0000000061A8: D3CD0038 1CE21552
	v_mul_f32_e32 v140, s47, v140                              // 0000000061B0: 0B19182F
	v_mul_f32_e32 v141, s47, v141                              // 0000000061B4: 0B1B1A2F
	v_mul_f32_e32 v142, s47, v142                              // 0000000061B8: 0B1D1C2F
	v_mul_f32_e32 v143, s47, v143                              // 0000000061BC: 0B1F1E2F
	v_mfma_f32_16x16x16_f16 v[56:59], a[84:85], a[12:13], v[56:59]// 0000000061C0: D3CD0038 1CE21954
	ds_write_b64 v20, v[136:137] offset:29440                  // 0000000061C8: D89A7300 00008814
	ds_write_b64 v20, v[138:139] offset:29952                  // 0000000061D0: D89A7500 00008A14
	v_mfma_f32_16x16x16_f16 v[56:59], a[86:87], a[14:15], v[56:59]// 0000000061D8: D3CD0038 1CE21D56
	ds_write_b64 v20, v[140:141] offset:30464                  // 0000000061E0: D89A7700 00008C14
	ds_write_b64 v20, v[142:143] offset:30976                  // 0000000061E8: D89A7900 00008E14
	v_mfma_f32_16x16x16_f16 v[56:59], a[88:89], a[16:17], v[56:59]// 0000000061F0: D3CD0038 1CE22158
	ds_read_b128 v[104:107], v12 offset:19584                  // 0000000061F8: D9FE4C80 6800000C
	v_mfma_f32_16x16x16_f16 v[56:59], a[90:91], a[18:19], v[56:59]// 000000006200: D3CD0038 1CE2255A
	ds_read_b128 v[108:111], v12 offset:20096                  // 000000006208: D9FE4E80 6C00000C
	v_mfma_f32_16x16x16_f16 v[56:59], a[92:93], a[20:21], v[56:59]// 000000006210: D3CD0038 1CE2295C
	ds_read_b128 v[112:115], v12 offset:21760                  // 000000006218: D9FE5500 7000000C
	ds_read_b128 v[116:119], v12 offset:22272                  // 000000006220: D9FE5700 7400000C
	v_mfma_f32_16x16x16_f16 v[56:59], a[94:95], a[22:23], v[56:59]// 000000006228: D3CD0038 1CE22D5E
	ds_read_b128 v[120:123], v12 offset:23936                  // 000000006230: D9FE5D80 7800000C
	ds_read_b128 v[124:127], v12 offset:24448                  // 000000006238: D9FE5F80 7C00000C
	s_cmp_eq_i32 s44, 0                                        // 000000006240: BF00802C
	s_cbranch_scc1 label_08B8                                  // 000000006244: BF850026
	s_cmp_lt_i32 s74, 4                                        // 000000006248: BF04844A
	s_cbranch_scc0 label_08A7                                  // 00000000624C: BF840013
	s_lshl_b32 s60, s74, 4                                     // 000000006250: 8E3C844A
	v_sub_i32 v28, v210, s60                                   // 000000006254: D29D001C 000079D2
	v_cmp_gt_i32_e64 s[60:61], v28, 0                          // 00000000625C: D0C4003C 0001011C
	v_cmp_gt_i32_e64 s[70:71], v28, 1                          // 000000006264: D0C40046 0001031C
	v_cndmask_b32_e64 v56, v56, v159, s[60:61]                 // 00000000626C: D1000038 00F33F38
	v_cndmask_b32_e64 v57, v57, v159, s[70:71]                 // 000000006274: D1000039 011B3F39
	v_cmp_gt_i32_e64 s[60:61], v28, 2                          // 00000000627C: D0C4003C 0001051C
	v_cmp_gt_i32_e64 s[70:71], v28, 3                          // 000000006284: D0C40046 0001071C
	v_cndmask_b32_e64 v58, v58, v159, s[60:61]                 // 00000000628C: D100003A 00F33F3A
	v_cndmask_b32_e64 v59, v59, v159, s[70:71]                 // 000000006294: D100003B 011B3F3B

000000000000629c <label_08A7>:
	s_cmp_lt_i32 s84, 64                                       // 00000000629C: BF04C054
	s_cbranch_scc0 label_08B8                                  // 0000000062A0: BF84000F
	v_and_b32_e32 v28, 15, v0                                  // 0000000062A4: 2638008F
	v_mul_i32_i24_e64 v29, s46, 16                             // 0000000062A8: D106001D 0001202E
	v_add_u32_e32 v28, v28, v29                                // 0000000062B0: 68383B1C
	v_cmp_lt_u32_e64 s[60:61], v28, s84                        // 0000000062B4: D0C9003C 0000A91C
	s_nop 1                                                    // 0000000062BC: BF800001
	v_cndmask_b32_e64 v56, v159, v56, s[60:61]                 // 0000000062C0: D1000038 00F2719F
	v_cndmask_b32_e64 v57, v159, v57, s[60:61]                 // 0000000062C8: D1000039 00F2739F
	v_cndmask_b32_e64 v58, v159, v58, s[60:61]                 // 0000000062D0: D100003A 00F2759F
	v_cndmask_b32_e64 v59, v159, v59, s[60:61]                 // 0000000062D8: D100003B 00F2779F

00000000000062e0 <label_08B8>:
	s_addk_i32 s74, 0x1                                        // 0000000062E0: B74A0001
	s_waitcnt lgkmcnt(6)                                       // 0000000062E4: BF8CC67F
	s_barrier                                                  // 0000000062E8: BF8A0000
	v_mfma_f32_16x16x16_f16 v[64:67], v[80:81], a[48:49], 0    // 0000000062EC: D3CD0040 12026150
	ds_read_b128 a[72:75], v12 offset:6528                     // 0000000062F4: DBFE1980 4800000C
	ds_read_b128 a[76:79], v12 offset:7040                     // 0000000062FC: DBFE1B80 4C00000C
	ds_write_b32 v11, v32                                      // 000000006304: D81A0000 0000200B
	ds_write_b32 v11, v33 offset:1056                          // 00000000630C: D81A0420 0000210B
	v_mfma_f32_16x16x16_f16 v[64:67], v[82:83], a[50:51], v[64:67]// 000000006314: D3CD0040 15026552
	v_fma_f32 v56, v56, s57, -v128                             // 00000000631C: D1CB0038 86007338
	v_fma_f32 v57, v57, s57, -v129                             // 000000006324: D1CB0039 86047339
	v_fma_f32 v58, v58, s57, -v130                             // 00000000632C: D1CB003A 8608733A
	v_fma_f32 v59, v59, s57, -v131                             // 000000006334: D1CB003B 860C733B
	v_mfma_f32_16x16x16_f16 v[64:67], v[84:85], a[52:53], v[64:67]// 00000000633C: D3CD0040 15026954
	ds_read_b128 a[80:83], v12 offset:8704                     // 000000006344: DBFE2200 5000000C
	ds_read_b128 a[84:87], v12 offset:9216                     // 00000000634C: DBFE2400 5400000C
	ds_write_b32 v11, v34 offset:2176                          // 000000006354: D81A0880 0000220B
	v_mfma_f32_16x16x16_f16 v[64:67], v[86:87], a[54:55], v[64:67]// 00000000635C: D3CD0040 15026D56
	v_exp_f32_e32 v56, v56                                     // 000000006364: 7E704138
	v_mfma_f32_16x16x16_f16 v[64:67], v[88:89], a[56:57], v[64:67]// 000000006368: D3CD0040 15027158
	ds_read_b128 a[88:91], v12 offset:10880                    // 000000006370: DBFE2A80 5800000C
	ds_read_b128 a[92:95], v12 offset:11392                    // 000000006378: DBFE2C80 5C00000C
	ds_write_b32 v11, v35 offset:3232                          // 000000006380: D81A0CA0 0000230B
	v_mfma_f32_16x16x16_f16 v[64:67], v[90:91], a[58:59], v[64:67]// 000000006388: D3CD0040 1502755A
	v_exp_f32_e32 v57, v57                                     // 000000006390: 7E724139
	v_mfma_f32_16x16x16_f16 v[64:67], v[92:93], a[60:61], v[64:67]// 000000006394: D3CD0040 1502795C
	ds_read_b64 v[144:145], v19 offset:28416                   // 00000000639C: D8EC6F00 90000013
	ds_read_b64 v[146:147], v19 offset:30464                   // 0000000063A4: D8EC7700 92000013
	ds_read_b64 v[148:149], v19 offset:32512                   // 0000000063AC: D8EC7F00 94000013
	ds_write_b32 v11, v36 offset:4352                          // 0000000063B4: D81A1100 0000240B
	v_mfma_f32_16x16x16_f16 v[64:67], v[94:95], a[62:63], v[64:67]// 0000000063BC: D3CD0040 15027D5E
	v_exp_f32_e32 v58, v58                                     // 0000000063C4: 7E74413A
	v_mfma_f32_16x16x16_f16 v[64:67], v[96:97], a[64:65], v[64:67]// 0000000063C8: D3CD0040 15028160
	ds_read_b64 v[150:151], v19 offset:34560                   // 0000000063D0: D8EC8700 96000013
	ds_read_b64 v[152:153], v19 offset:36608                   // 0000000063D8: D8EC8F00 98000013
	ds_read_b64 v[154:155], v19 offset:38656                   // 0000000063E0: D8EC9700 9A000013
	ds_write_b32 v11, v37 offset:5408                          // 0000000063E8: D81A1520 0000250B
	v_mfma_f32_16x16x16_f16 v[64:67], v[98:99], a[66:67], v[64:67]// 0000000063F0: D3CD0040 15028562
	v_exp_f32_e32 v59, v59                                     // 0000000063F8: 7E76413B
	v_mfma_f32_16x16x16_f16 v[64:67], v[100:101], a[68:69], v[64:67]// 0000000063FC: D3CD0040 15028964
	v_cvt_pkrtz_f16_f32 v156, v56, v57                         // 000000006404: D296009C 00027338
	v_mfma_f32_16x16x16_f16 v[64:67], v[102:103], a[70:71], v[64:67]// 00000000640C: D3CD0040 15028D66
	v_cvt_pkrtz_f16_f32 v157, v58, v59                         // 000000006414: D296009D 0002773A
	v_add_u32_e32 v7, s66, v7                                  // 00000000641C: 680E0E42
	v_add_u32_e32 v8, s66, v8                                  // 000000006420: 68101042
	s_waitcnt lgkmcnt(0)                                       // 000000006424: BF8CC07F
	s_barrier                                                  // 000000006428: BF8A0000
	v_mfma_f32_16x16x16_f16 v[160:163], v[104:105], v[156:157], v[160:163]// 00000000642C: D3CD00A0 06833968
	v_subrev_f32_dpp v64, v158, v64 quad_perm:[0,0,0,0] row_mask:0xf bank_mask:0xf// 000000006434: 068080FA FF00009E
	v_subrev_f32_dpp v65, v158, v65 quad_perm:[1,1,1,1] row_mask:0xf bank_mask:0xf// 00000000643C: 068282FA FF00559E
	buffer_atomic_add_f32 v144, v7, s[32:35], 0 offen          // 000000006444: E1341000 80089007
	v_mfma_f32_16x16x16_f16 v[164:167], v[106:107], v[156:157], v[164:167]// 00000000644C: D3CD00A4 0693396A
	v_subrev_f32_dpp v66, v158, v66 quad_perm:[2,2,2,2] row_mask:0xf bank_mask:0xf// 000000006454: 068484FA FF00AA9E
	v_subrev_f32_dpp v67, v158, v67 quad_perm:[3,3,3,3] row_mask:0xf bank_mask:0xf// 00000000645C: 068686FA FF00FF9E
	buffer_atomic_add_f32 v145, v8, s[32:35], 0 offen          // 000000006464: E1341000 80089108
	v_mfma_f32_16x16x16_f16 v[168:171], v[108:109], v[156:157], v[168:171]// 00000000646C: D3CD00A8 06A3396C
	v_mul_f32_e32 v64, v56, v64                                // 000000006474: 0A808138
	v_mul_f32_e32 v65, v57, v65                                // 000000006478: 0A828339
	buffer_atomic_add_f32 v146, v7, s[32:35], 0 offen offset:128// 00000000647C: E1341080 80089207
	v_mfma_f32_16x16x16_f16 v[172:175], v[110:111], v[156:157], v[172:175]// 000000006484: D3CD00AC 06B3396E
	v_mul_f32_e32 v66, v58, v66                                // 00000000648C: 0A84853A
	v_mul_f32_e32 v67, v59, v67                                // 000000006490: 0A86873B
	buffer_atomic_add_f32 v147, v8, s[32:35], 0 offen offset:128// 000000006494: E1341080 80089308
	v_mfma_f32_16x16x16_f16 v[176:179], v[112:113], v[156:157], v[176:179]// 00000000649C: D3CD00B0 06C33970
	v_cvt_pkrtz_f16_f32 v64, v64, v65                          // 0000000064A4: D2960040 00028340
	v_mfma_f32_16x16x16_f16 v[180:183], v[114:115], v[156:157], v[180:183]// 0000000064AC: D3CD00B4 06D33972
	v_cvt_pkrtz_f16_f32 v65, v66, v67                          // 0000000064B4: D2960041 00028742
	v_mfma_f32_16x16x16_f16 v[184:187], v[116:117], v[156:157], v[184:187]// 0000000064BC: D3CD00B8 06E33974
	v_mov_b32_dpp v16, v64 quad_perm:[1,0,3,2] row_mask:0xf bank_mask:0xf// 0000000064C4: 7E2002FA FF00B140
	v_perm_b32 v56, v16, v64, v15                              // 0000000064CC: D1ED0038 043E8110
	buffer_atomic_add_f32 v148, v7, s[32:35], 0 offen offset:256// 0000000064D4: E1341100 80089407
	v_mfma_f32_16x16x16_f16 v[188:191], v[118:119], v[156:157], v[188:191]// 0000000064DC: D3CD00BC 06F33976
	v_mov_b32_dpp v16, v65 quad_perm:[1,0,3,2] row_mask:0xf bank_mask:0xf// 0000000064E4: 7E2002FA FF00B141
	v_perm_b32 v57, v16, v65, v15                              // 0000000064EC: D1ED0039 043E8310
	buffer_atomic_add_f32 v149, v8, s[32:35], 0 offen offset:256// 0000000064F4: E1341100 80089508
	v_mfma_f32_16x16x16_f16 v[192:195], v[120:121], v[156:157], v[192:195]// 0000000064FC: D3CD00C0 07033978
	ds_write_b32 v13, v68 offset:6528                          // 000000006504: D81A1980 0000440D
	ds_write_b32 v13, v69 offset:7584                          // 00000000650C: D81A1DA0 0000450D
	v_mfma_f32_16x16x16_f16 v[196:199], v[122:123], v[156:157], v[196:199]// 000000006514: D3CD00C4 0713397A
	ds_write_b32 v18, v56 offset:26112                         // 00000000651C: D81A6600 00003812
	ds_write_b32 v18, v57 offset:26656                         // 000000006524: D81A6820 00003912
	v_mfma_f32_16x16x16_f16 v[200:203], v[124:125], v[156:157], v[200:203]// 00000000652C: D3CD00C8 0723397C
	ds_write_b32 v13, v70 offset:8704                          // 000000006534: D81A2200 0000460D
	ds_write_b32 v13, v71 offset:9760                          // 00000000653C: D81A2620 0000470D
	v_mfma_f32_16x16x16_f16 v[204:207], v[126:127], v[156:157], v[204:207]// 000000006544: D3CD00CC 0733397E
	ds_write_b32 v13, v72 offset:10880                         // 00000000654C: D81A2A80 0000480D
	ds_write_b32 v13, v73 offset:11936                         // 000000006554: D81A2EA0 0000490D
	s_barrier                                                  // 00000000655C: BF8A0000
	v_mfma_f32_16x16x16_f16 a[96:99], a[72:73], v[64:65], a[96:99]// 000000006560: D3CD8060 0D828148
	buffer_atomic_add_f32 v150, v7, s[32:35], 0 offen offset:384// 000000006568: E1341180 80089607
	buffer_atomic_add_f32 v151, v8, s[32:35], 0 offen offset:384// 000000006570: E1341180 80089708
	v_mfma_f32_16x16x16_f16 a[100:103], a[74:75], v[64:65], a[100:103]// 000000006578: D3CD8064 0D92814A
	ds_read_b32 v128, v21 offset:40704                         // 000000006580: D86C9F00 80000015
	ds_read_b32 v158, v21 offset:40960                         // 000000006588: D86CA000 9E000015
	v_mfma_f32_16x16x16_f16 a[104:107], a[76:77], v[64:65], a[104:107]// 000000006590: D3CD8068 0DA2814C
	s_waitcnt lgkmcnt(6)                                       // 000000006598: BF8CC67F
	s_barrier                                                  // 00000000659C: BF8A0000
	v_mfma_f32_16x16x16_f16 a[108:111], a[78:79], v[64:65], a[108:111]// 0000000065A0: D3CD806C 0DB2814E
	ds_read_b128 v[56:59], v17 offset:26112                    // 0000000065A8: D9FE6600 38000011
	v_mfma_f32_16x16x16_f16 a[112:115], a[80:81], v[64:65], a[112:115]// 0000000065B0: D3CD8070 0DC28150
	s_mov_b64 exec, s[82:83]                                   // 0000000065B8: BEFE0152
	buffer_atomic_add_f32 v152, v7, s[32:35], 0 offen offset:512// 0000000065BC: E1341200 80089807
	s_mov_b32 exec_lo, -1                                      // 0000000065C4: BEFE00C1
	s_mov_b32 exec_hi, -1                                      // 0000000065C8: BEFF00C1
	v_mfma_f32_16x16x16_f16 a[116:119], a[82:83], v[64:65], a[116:119]// 0000000065CC: D3CD8074 0DD28152
	ds_read_b128 v[60:63], v17 offset:27264                    // 0000000065D4: D9FE6A80 3C000011
	v_mfma_f32_16x16x16_f16 a[120:123], a[84:85], v[64:65], a[120:123]// 0000000065DC: D3CD8078 0DE28154
	s_mov_b64 exec, s[82:83]                                   // 0000000065E4: BEFE0152
	buffer_atomic_add_f32 v153, v8, s[32:35], 0 offen offset:512// 0000000065E8: E1341200 80089908
	s_mov_b32 exec_lo, -1                                      // 0000000065F0: BEFE00C1
	s_mov_b32 exec_hi, -1                                      // 0000000065F4: BEFF00C1
	v_mfma_f32_16x16x16_f16 a[124:127], a[86:87], v[64:65], a[124:127]// 0000000065F8: D3CD807C 0DF28156
	ds_write_b32 v13, v74 offset:19584                         // 000000006600: D81A4C80 00004A0D
	ds_write_b32 v13, v75 offset:20640                         // 000000006608: D81A50A0 00004B0D
	v_mfma_f32_16x16x16_f16 a[128:131], a[88:89], v[64:65], a[128:131]// 000000006610: D3CD8080 0E028158
	s_mov_b64 exec, s[92:93]                                   // 000000006618: BEFE015C
	buffer_atomic_add_f32 v154, v7, s[32:35], 0 offen offset:640// 00000000661C: E1341280 80089A07
	s_mov_b32 exec_lo, -1                                      // 000000006624: BEFE00C1
	s_mov_b32 exec_hi, -1                                      // 000000006628: BEFF00C1
	v_mfma_f32_16x16x16_f16 a[132:135], a[90:91], v[64:65], a[132:135]// 00000000662C: D3CD8084 0E12815A
	ds_write_b32 v13, v76 offset:21760                         // 000000006634: D81A5500 00004C0D
	ds_write_b32 v13, v77 offset:22816                         // 00000000663C: D81A5920 00004D0D
	v_mfma_f32_16x16x16_f16 a[136:139], a[92:93], v[64:65], a[136:139]// 000000006644: D3CD8088 0E22815C
	s_mov_b64 exec, s[92:93]                                   // 00000000664C: BEFE015C
	buffer_atomic_add_f32 v155, v8, s[32:35], 0 offen offset:640// 000000006650: E1341280 80089B08
	s_mov_b32 exec_lo, -1                                      // 000000006658: BEFE00C1
	s_mov_b32 exec_hi, -1                                      // 00000000665C: BEFF00C1
	v_mfma_f32_16x16x16_f16 a[140:143], a[94:95], v[64:65], a[140:143]// 000000006660: D3CD808C 0E32815E
	ds_write_b32 v13, v78 offset:23936                         // 000000006668: D81A5D80 00004E0D
	ds_write_b32 v13, v79 offset:24992                         // 000000006670: D81A61A0 00004F0D
	s_waitcnt vmcnt(12) lgkmcnt(6)                             // 000000006678: BF8C067C
	s_barrier                                                  // 00000000667C: BF8A0000
	v_mfma_f32_16x16x16_f16 v[132:135], v[56:57], a[24:25], 0  // 000000006680: D3CD0084 12023138
	v_mul_f32_e32 v128, s48, v128                              // 000000006688: 0B010030
	v_perm_b32 v68, v39, v38, s63                              // 00000000668C: D1ED0044 00FE4D27
	v_perm_b32 v69, v39, v38, s64                              // 000000006694: D1ED0045 01024D27
	v_perm_b32 v70, v41, v40, s63                              // 00000000669C: D1ED0046 00FE5129
	v_mfma_f32_16x16x16_f16 v[132:135], v[58:59], a[30:31], v[132:135]// 0000000066A4: D3CD0084 16123D3A
	ds_read_b128 a[72:75], v10                                 // 0000000066AC: DBFE0000 4800000A
	ds_read_b128 a[76:79], v10 offset:512                      // 0000000066B4: DBFE0200 4C00000A
	ds_read_b128 a[80:83], v10 offset:2176                     // 0000000066BC: DBFE0880 5000000A
	buffer_load_dword v32, v1, s[8:11], 0 idxen                // 0000000066C4: E0502000 80022001
	buffer_load_dword v33, v2, s[8:11], 0 idxen                // 0000000066CC: E0502000 80022102
	v_mfma_f32_16x16x16_f16 v[132:135], v[60:61], a[36:37], v[132:135]// 0000000066D4: D3CD0084 1612493C
	v_perm_b32 v71, v41, v40, s64                              // 0000000066DC: D1ED0047 01025129
	v_perm_b32 v72, v43, v42, s63                              // 0000000066E4: D1ED0048 00FE552B
	v_perm_b32 v73, v43, v42, s64                              // 0000000066EC: D1ED0049 0102552B
	v_mfma_f32_16x16x16_f16 v[132:135], v[62:63], a[42:43], v[132:135]// 0000000066F4: D3CD0084 1612553E
	ds_read_b128 a[84:87], v10 offset:2688                     // 0000000066FC: DBFE0A80 5400000A
	ds_read_b128 a[88:91], v10 offset:4352                     // 000000006704: DBFE1100 5800000A
	ds_read_b128 a[92:95], v10 offset:4864                     // 00000000670C: DBFE1300 5C00000A
	buffer_load_dword v34, v1, s[8:11], 0 idxen offset:128     // 000000006714: E0502080 80022201
	buffer_load_dword v35, v2, s[8:11], 0 idxen offset:128     // 00000000671C: E0502080 80022302
	v_mfma_f32_16x16x16_f16 v[136:139], v[56:57], a[26:27], 0  // 000000006724: D3CD0088 12023538
	v_perm_b32 v74, v51, v50, s63                              // 00000000672C: D1ED004A 00FE6533
	v_perm_b32 v75, v51, v50, s64                              // 000000006734: D1ED004B 01026533
	v_perm_b32 v76, v53, v52, s63                              // 00000000673C: D1ED004C 00FE6935
	v_mov_b32_dpp v131, v128 quad_perm:[3,3,3,3] row_mask:0xf bank_mask:0xf// 000000006744: 7F0602FA FF00FF80
	v_mov_b32_dpp v130, v128 quad_perm:[2,2,2,2] row_mask:0xf bank_mask:0xf// 00000000674C: 7F0402FA FF00AA80
	v_mfma_f32_16x16x16_f16 v[136:139], v[58:59], a[32:33], v[136:139]// 000000006754: D3CD0088 1622413A
	ds_read_b128 v[80:83], v10 offset:13056                    // 00000000675C: D9FE3300 5000000A
	ds_read_b128 v[84:87], v10 offset:13568                    // 000000006764: D9FE3500 5400000A
	ds_read_b128 v[88:91], v10 offset:15232                    // 00000000676C: D9FE3B80 5800000A
	buffer_load_dword v44, v208, s[20:23], 0 idxen             // 000000006774: E0502000 80052CD0
	buffer_load_dword v45, v209, s[20:23], 0 idxen             // 00000000677C: E0502000 80052DD1
	v_mfma_f32_16x16x16_f16 v[136:139], v[60:61], a[38:39], v[136:139]// 000000006784: D3CD0088 16224D3C
	v_perm_b32 v77, v53, v52, s64                              // 00000000678C: D1ED004D 01026935
	v_perm_b32 v78, v55, v54, s63                              // 000000006794: D1ED004E 00FE6D37
	v_perm_b32 v79, v55, v54, s64                              // 00000000679C: D1ED004F 01026D37
	v_mov_b32_dpp v129, v128 quad_perm:[1,1,1,1] row_mask:0xf bank_mask:0xf// 0000000067A4: 7F0202FA FF005580
	v_mov_b32_dpp v128, v128 quad_perm:[0,0,0,0] row_mask:0xf bank_mask:0xf// 0000000067AC: 7F0002FA FF000080
	v_mfma_f32_16x16x16_f16 v[136:139], v[62:63], a[44:45], v[136:139]// 0000000067B4: D3CD0088 1622593E
	ds_read_b128 v[92:95], v10 offset:15744                    // 0000000067BC: D9FE3D80 5C00000A
	ds_read_b128 v[96:99], v10 offset:17408                    // 0000000067C4: D9FE4400 6000000A
	ds_read_b128 v[100:103], v10 offset:17920                  // 0000000067CC: D9FE4600 6400000A
	buffer_load_dword v46, v208, s[20:23], 0 idxen offset:128  // 0000000067D4: E0502080 80052ED0
	buffer_load_dword v47, v209, s[20:23], 0 idxen offset:128  // 0000000067DC: E0502080 80052FD1
	v_mfma_f32_16x16x16_f16 v[140:143], v[56:57], a[28:29], 0  // 0000000067E4: D3CD008C 12023938
	s_add_u32 s60, 64, s59                                     // 0000000067EC: 803C3BC0
	s_cmp_lt_u32 s60, s58                                      // 0000000067F0: BF0A3A3C
	s_cselect_b32 s68, s68, 0                                  // 0000000067F4: 85448044
	s_cselect_b32 s100, s100, 0                                // 0000000067F8: 85648064
	s_cselect_b32 s69, s69, 0                                  // 0000000067FC: 85458045
	v_mfma_f32_16x16x16_f16 v[140:143], v[58:59], a[34:35], v[140:143]// 000000006800: D3CD008C 1632453A
	buffer_load_dword v9, s[24:27], 0 idxen lds                // 000000006808: E0512000 80060009
	v_mov_b32_e32 v36, 0                                       // 000000006810: 7E480280
	s_mov_b64 exec, s[80:81]                                   // 000000006814: BEFE0150
	buffer_load_dword v36, v1, s[8:11], 0 idxen offset:256     // 000000006818: E0502100 80022401
	s_mov_b32 exec_lo, -1                                      // 000000006820: BEFE00C1
	s_mov_b32 exec_hi, -1                                      // 000000006824: BEFF00C1
	v_mov_b32_e32 v37, 0                                       // 000000006828: 7E4A0280
	s_mov_b64 exec, s[80:81]                                   // 00000000682C: BEFE0150
	buffer_load_dword v37, v2, s[8:11], 0 idxen offset:256     // 000000006830: E0502100 80022502
	s_mov_b32 exec_lo, -1                                      // 000000006838: BEFE00C1
	s_mov_b32 exec_hi, -1                                      // 00000000683C: BEFF00C1
	v_mfma_f32_16x16x16_f16 v[140:143], v[60:61], a[40:41], v[140:143]// 000000006840: D3CD008C 1632513C
	v_mov_b32_e32 v48, 0                                       // 000000006848: 7E600280
	s_mov_b64 exec, s[80:81]                                   // 00000000684C: BEFE0150
	buffer_load_dword v48, v208, s[20:23], 0 idxen offset:256  // 000000006850: E0502100 800530D0
	s_mov_b32 exec_lo, -1                                      // 000000006858: BEFE00C1
	s_mov_b32 exec_hi, -1                                      // 00000000685C: BEFF00C1
	v_mov_b32_e32 v49, 0                                       // 000000006860: 7E620280
	s_mov_b64 exec, s[80:81]                                   // 000000006864: BEFE0150
	buffer_load_dword v49, v209, s[20:23], 0 idxen offset:256  // 000000006868: E0502100 800531D1
	s_mov_b32 exec_lo, -1                                      // 000000006870: BEFE00C1
	s_mov_b32 exec_hi, -1                                      // 000000006874: BEFF00C1
	v_add_u32_e32 v1, s68, v1                                  // 000000006878: 68020244
	v_add_u32_e32 v2, s68, v2                                  // 00000000687C: 68040444
	v_add_u32_e32 v208, s100, v208                             // 000000006880: 69A1A064
	v_add_u32_e32 v209, s100, v209                             // 000000006884: 69A3A264
	s_mov_b32 m0, s79                                          // 000000006888: BEFC004F
	v_add_u32_e32 v9, s69, v9                                  // 00000000688C: 68121245
	v_mfma_f32_16x16x16_f16 v[140:143], v[62:63], a[46:47], v[140:143]// 000000006890: D3CD008C 16325D3E
	s_cmp_ge_u32 s59, s73                                      // 000000006898: BF09493B
	s_cselect_b32 s66, s67, s66                                // 00000000689C: 85424243
	s_addk_i32 s59, 0x10                                       // 0000000068A0: B73B0010
	s_nop 0                                                    // 0000000068A4: BF800000
	s_cmp_lt_i32 s59, s58                                      // 0000000068A8: BF043A3B
	s_cbranch_scc0 label_0A2D                                  // 0000000068AC: BF840001
	s_branch label_0660                                        // 0000000068B0: BF82FC33

00000000000068b4 <label_0A2D>:
	s_nop 0                                                    // 0000000068B4: BF800000
	s_nop 0                                                    // 0000000068B8: BF800000
	s_nop 0                                                    // 0000000068BC: BF800000
	s_nop 0                                                    // 0000000068C0: BF800000
	s_nop 0                                                    // 0000000068C4: BF800000
	s_nop 0                                                    // 0000000068C8: BF800000
	s_branch label_0E01                                        // 0000000068CC: BF8203CD

00000000000068d0 <label_0A34>:
	s_waitcnt lgkmcnt(0)                                       // 0000000068D0: BF8CC07F
	s_barrier                                                  // 0000000068D4: BF8A0000
	v_mfma_f32_16x16x16_f16 v[56:59], a[72:73], a[0:1], 0      // 0000000068D8: D3CD0038 1A020148
	v_mul_f32_e32 v132, s47, v132                              // 0000000068E0: 0B09082F
	v_mul_f32_e32 v133, s47, v133                              // 0000000068E4: 0B0B0A2F
	v_mul_f32_e32 v134, s47, v134                              // 0000000068E8: 0B0D0C2F
	v_mul_f32_e32 v135, s47, v135                              // 0000000068EC: 0B0F0E2F
	v_mfma_f32_16x16x16_f16 v[56:59], a[74:75], a[2:3], v[56:59]// 0000000068F0: D3CD0038 1CE2054A
	ds_write_b32 v11, v50 offset:13056                         // 0000000068F8: D81A3300 0000320B
	ds_write_b32 v11, v51 offset:14112                         // 000000006900: D81A3720 0000330B
	ds_write_b32 v11, v52 offset:15232                         // 000000006908: D81A3B80 0000340B
	v_mfma_f32_16x16x16_f16 v[56:59], a[76:77], a[4:5], v[56:59]// 000000006910: D3CD0038 1CE2094C
	v_mul_f32_e32 v136, s47, v136                              // 000000006918: 0B11102F
	v_mul_f32_e32 v137, s47, v137                              // 00000000691C: 0B13122F
	v_mul_f32_e32 v138, s47, v138                              // 000000006920: 0B15142F
	v_mul_f32_e32 v139, s47, v139                              // 000000006924: 0B17162F
	v_mfma_f32_16x16x16_f16 v[56:59], a[78:79], a[6:7], v[56:59]// 000000006928: D3CD0038 1CE20D4E
	ds_write_b32 v11, v53 offset:16288                         // 000000006930: D81A3FA0 0000350B
	ds_write_b32 v11, v54 offset:17408                         // 000000006938: D81A4400 0000360B
	ds_write_b32 v11, v55 offset:18464                         // 000000006940: D81A4820 0000370B
	v_mfma_f32_16x16x16_f16 v[56:59], a[80:81], a[8:9], v[56:59]// 000000006948: D3CD0038 1CE21150
	v_mul_f32_e32 v140, s47, v140                              // 000000006950: 0B19182F
	v_mul_f32_e32 v141, s47, v141                              // 000000006954: 0B1B1A2F
	v_mul_f32_e32 v142, s47, v142                              // 000000006958: 0B1D1C2F
	v_mul_f32_e32 v143, s47, v143                              // 00000000695C: 0B1F1E2F
	v_mfma_f32_16x16x16_f16 v[56:59], a[82:83], a[10:11], v[56:59]// 000000006960: D3CD0038 1CE21552
	ds_write_b64 v20, v[132:133] offset:28416                  // 000000006968: D89A6F00 00008414
	ds_write_b64 v20, v[134:135] offset:28928                  // 000000006970: D89A7100 00008614
	v_mfma_f32_16x16x16_f16 v[56:59], a[84:85], a[12:13], v[56:59]// 000000006978: D3CD0038 1CE21954
	ds_write_b64 v20, v[136:137] offset:29440                  // 000000006980: D89A7300 00008814
	ds_write_b64 v20, v[138:139] offset:29952                  // 000000006988: D89A7500 00008A14
	v_mfma_f32_16x16x16_f16 v[56:59], a[86:87], a[14:15], v[56:59]// 000000006990: D3CD0038 1CE21D56
	ds_write_b64 v20, v[140:141] offset:30464                  // 000000006998: D89A7700 00008C14
	ds_write_b64 v20, v[142:143] offset:30976                  // 0000000069A0: D89A7900 00008E14
	v_mfma_f32_16x16x16_f16 v[56:59], a[88:89], a[16:17], v[56:59]// 0000000069A8: D3CD0038 1CE22158
	ds_read_b128 v[104:107], v12 offset:19584                  // 0000000069B0: D9FE4C80 6800000C
	v_mfma_f32_16x16x16_f16 v[56:59], a[90:91], a[18:19], v[56:59]// 0000000069B8: D3CD0038 1CE2255A
	ds_read_b128 v[108:111], v12 offset:20096                  // 0000000069C0: D9FE4E80 6C00000C
	v_mfma_f32_16x16x16_f16 v[56:59], a[92:93], a[20:21], v[56:59]// 0000000069C8: D3CD0038 1CE2295C
	ds_read_b128 v[112:115], v12 offset:21760                  // 0000000069D0: D9FE5500 7000000C
	ds_read_b128 v[116:119], v12 offset:22272                  // 0000000069D8: D9FE5700 7400000C
	v_mfma_f32_16x16x16_f16 v[56:59], a[94:95], a[22:23], v[56:59]// 0000000069E0: D3CD0038 1CE22D5E
	ds_read_b128 v[120:123], v12 offset:23936                  // 0000000069E8: D9FE5D80 7800000C
	ds_read_b128 v[124:127], v12 offset:24448                  // 0000000069F0: D9FE5F80 7C00000C
	s_cmp_eq_i32 s44, 0                                        // 0000000069F8: BF00802C
	s_cbranch_scc1 label_0AA6                                  // 0000000069FC: BF850026
	s_cmp_lt_i32 s74, 4                                        // 000000006A00: BF04844A
	s_cbranch_scc0 label_0A95                                  // 000000006A04: BF840013
	s_lshl_b32 s60, s74, 4                                     // 000000006A08: 8E3C844A
	v_sub_i32 v28, v210, s60                                   // 000000006A0C: D29D001C 000079D2
	v_cmp_gt_i32_e64 s[60:61], v28, 0                          // 000000006A14: D0C4003C 0001011C
	v_cmp_gt_i32_e64 s[70:71], v28, 1                          // 000000006A1C: D0C40046 0001031C
	v_cndmask_b32_e64 v56, v56, v159, s[60:61]                 // 000000006A24: D1000038 00F33F38
	v_cndmask_b32_e64 v57, v57, v159, s[70:71]                 // 000000006A2C: D1000039 011B3F39
	v_cmp_gt_i32_e64 s[60:61], v28, 2                          // 000000006A34: D0C4003C 0001051C
	v_cmp_gt_i32_e64 s[70:71], v28, 3                          // 000000006A3C: D0C40046 0001071C
	v_cndmask_b32_e64 v58, v58, v159, s[60:61]                 // 000000006A44: D100003A 00F33F3A
	v_cndmask_b32_e64 v59, v59, v159, s[70:71]                 // 000000006A4C: D100003B 011B3F3B

0000000000006a54 <label_0A95>:
	s_cmp_lt_i32 s84, 64                                       // 000000006A54: BF04C054
	s_cbranch_scc0 label_0AA6                                  // 000000006A58: BF84000F
	v_and_b32_e32 v28, 15, v0                                  // 000000006A5C: 2638008F
	v_mul_i32_i24_e64 v29, s46, 16                             // 000000006A60: D106001D 0001202E
	v_add_u32_e32 v28, v28, v29                                // 000000006A68: 68383B1C
	v_cmp_lt_u32_e64 s[60:61], v28, s84                        // 000000006A6C: D0C9003C 0000A91C
	s_nop 1                                                    // 000000006A74: BF800001
	v_cndmask_b32_e64 v56, v159, v56, s[60:61]                 // 000000006A78: D1000038 00F2719F
	v_cndmask_b32_e64 v57, v159, v57, s[60:61]                 // 000000006A80: D1000039 00F2739F
	v_cndmask_b32_e64 v58, v159, v58, s[60:61]                 // 000000006A88: D100003A 00F2759F
	v_cndmask_b32_e64 v59, v159, v59, s[60:61]                 // 000000006A90: D100003B 00F2779F

0000000000006a98 <label_0AA6>:
	s_addk_i32 s74, 0x1                                        // 000000006A98: B74A0001
	s_waitcnt lgkmcnt(6)                                       // 000000006A9C: BF8CC67F
	s_barrier                                                  // 000000006AA0: BF8A0000
	v_mfma_f32_16x16x16_f16 v[64:67], v[80:81], a[48:49], 0    // 000000006AA4: D3CD0040 12026150
	v_fma_f32 v56, v56, s57, -v128                             // 000000006AAC: D1CB0038 86007338
	v_fma_f32 v57, v57, s57, -v129                             // 000000006AB4: D1CB0039 86047339
	v_fma_f32 v58, v58, s57, -v130                             // 000000006ABC: D1CB003A 8608733A
	v_fma_f32 v59, v59, s57, -v131                             // 000000006AC4: D1CB003B 860C733B
	v_mfma_f32_16x16x16_f16 v[64:67], v[82:83], a[50:51], v[64:67]// 000000006ACC: D3CD0040 15026552
	ds_read_b128 a[72:75], v12 offset:6528                     // 000000006AD4: DBFE1980 4800000C
	ds_read_b128 a[76:79], v12 offset:7040                     // 000000006ADC: DBFE1B80 4C00000C
	ds_write_b32 v11, v38                                      // 000000006AE4: D81A0000 0000260B
	ds_write_b32 v11, v39 offset:1056                          // 000000006AEC: D81A0420 0000270B
	v_mfma_f32_16x16x16_f16 v[64:67], v[84:85], a[52:53], v[64:67]// 000000006AF4: D3CD0040 15026954
	v_exp_f32_e32 v56, v56                                     // 000000006AFC: 7E704138
	v_mfma_f32_16x16x16_f16 v[64:67], v[86:87], a[54:55], v[64:67]// 000000006B00: D3CD0040 15026D56
	ds_read_b128 a[80:83], v12 offset:8704                     // 000000006B08: DBFE2200 5000000C
	ds_read_b128 a[84:87], v12 offset:9216                     // 000000006B10: DBFE2400 5400000C
	ds_write_b32 v11, v40 offset:2176                          // 000000006B18: D81A0880 0000280B
	v_mfma_f32_16x16x16_f16 v[64:67], v[88:89], a[56:57], v[64:67]// 000000006B20: D3CD0040 15027158
	v_exp_f32_e32 v57, v57                                     // 000000006B28: 7E724139
	v_mfma_f32_16x16x16_f16 v[64:67], v[90:91], a[58:59], v[64:67]// 000000006B2C: D3CD0040 1502755A
	ds_read_b128 a[88:91], v12 offset:10880                    // 000000006B34: DBFE2A80 5800000C
	ds_read_b128 a[92:95], v12 offset:11392                    // 000000006B3C: DBFE2C80 5C00000C
	ds_write_b32 v11, v41 offset:3232                          // 000000006B44: D81A0CA0 0000290B
	v_mfma_f32_16x16x16_f16 v[64:67], v[92:93], a[60:61], v[64:67]// 000000006B4C: D3CD0040 1502795C
	v_exp_f32_e32 v58, v58                                     // 000000006B54: 7E74413A
	v_mfma_f32_16x16x16_f16 v[64:67], v[94:95], a[62:63], v[64:67]// 000000006B58: D3CD0040 15027D5E
	ds_read_b64 v[144:145], v19 offset:28416                   // 000000006B60: D8EC6F00 90000013
	ds_read_b64 v[146:147], v19 offset:30464                   // 000000006B68: D8EC7700 92000013
	ds_read_b64 v[148:149], v19 offset:32512                   // 000000006B70: D8EC7F00 94000013
	ds_write_b32 v11, v42 offset:4352                          // 000000006B78: D81A1100 00002A0B
	v_mfma_f32_16x16x16_f16 v[64:67], v[96:97], a[64:65], v[64:67]// 000000006B80: D3CD0040 15028160
	v_exp_f32_e32 v59, v59                                     // 000000006B88: 7E76413B
	v_mfma_f32_16x16x16_f16 v[64:67], v[98:99], a[66:67], v[64:67]// 000000006B8C: D3CD0040 15028562
	ds_read_b64 v[150:151], v19 offset:34560                   // 000000006B94: D8EC8700 96000013
	ds_read_b64 v[152:153], v19 offset:36608                   // 000000006B9C: D8EC8F00 98000013
	ds_read_b64 v[154:155], v19 offset:38656                   // 000000006BA4: D8EC9700 9A000013
	ds_write_b32 v11, v43 offset:5408                          // 000000006BAC: D81A1520 00002B0B
	v_mfma_f32_16x16x16_f16 v[64:67], v[100:101], a[68:69], v[64:67]// 000000006BB4: D3CD0040 15028964
	v_cvt_pkrtz_f16_f32 v156, v56, v57                         // 000000006BBC: D296009C 00027338
	v_mfma_f32_16x16x16_f16 v[64:67], v[102:103], a[70:71], v[64:67]// 000000006BC4: D3CD0040 15028D66
	v_cvt_pkrtz_f16_f32 v157, v58, v59                         // 000000006BCC: D296009D 0002773A
	v_add_u32_e32 v7, s66, v7                                  // 000000006BD4: 680E0E42
	v_add_u32_e32 v8, s66, v8                                  // 000000006BD8: 68101042
	s_waitcnt lgkmcnt(0)                                       // 000000006BDC: BF8CC07F
	s_barrier                                                  // 000000006BE0: BF8A0000
	v_mfma_f32_16x16x16_f16 v[160:163], v[104:105], v[156:157], v[160:163]// 000000006BE4: D3CD00A0 06833968
	v_subrev_f32_dpp v64, v158, v64 quad_perm:[0,0,0,0] row_mask:0xf bank_mask:0xf// 000000006BEC: 068080FA FF00009E
	v_subrev_f32_dpp v65, v158, v65 quad_perm:[1,1,1,1] row_mask:0xf bank_mask:0xf// 000000006BF4: 068282FA FF00559E
	buffer_atomic_add_f32 v144, v7, s[32:35], 0 offen          // 000000006BFC: E1341000 80089007
	v_mfma_f32_16x16x16_f16 v[164:167], v[106:107], v[156:157], v[164:167]// 000000006C04: D3CD00A4 0693396A
	v_subrev_f32_dpp v66, v158, v66 quad_perm:[2,2,2,2] row_mask:0xf bank_mask:0xf// 000000006C0C: 068484FA FF00AA9E
	v_subrev_f32_dpp v67, v158, v67 quad_perm:[3,3,3,3] row_mask:0xf bank_mask:0xf// 000000006C14: 068686FA FF00FF9E
	buffer_atomic_add_f32 v145, v8, s[32:35], 0 offen          // 000000006C1C: E1341000 80089108
	v_mfma_f32_16x16x16_f16 v[168:171], v[108:109], v[156:157], v[168:171]// 000000006C24: D3CD00A8 06A3396C
	v_mul_f32_e32 v64, v56, v64                                // 000000006C2C: 0A808138
	v_mul_f32_e32 v65, v57, v65                                // 000000006C30: 0A828339
	buffer_atomic_add_f32 v146, v7, s[32:35], 0 offen offset:128// 000000006C34: E1341080 80089207
	v_mfma_f32_16x16x16_f16 v[172:175], v[110:111], v[156:157], v[172:175]// 000000006C3C: D3CD00AC 06B3396E
	v_mul_f32_e32 v66, v58, v66                                // 000000006C44: 0A84853A
	v_mul_f32_e32 v67, v59, v67                                // 000000006C48: 0A86873B
	buffer_atomic_add_f32 v147, v8, s[32:35], 0 offen offset:128// 000000006C4C: E1341080 80089308
	v_mfma_f32_16x16x16_f16 v[176:179], v[112:113], v[156:157], v[176:179]// 000000006C54: D3CD00B0 06C33970
	v_cvt_pkrtz_f16_f32 v64, v64, v65                          // 000000006C5C: D2960040 00028340
	v_mfma_f32_16x16x16_f16 v[180:183], v[114:115], v[156:157], v[180:183]// 000000006C64: D3CD00B4 06D33972
	v_cvt_pkrtz_f16_f32 v65, v66, v67                          // 000000006C6C: D2960041 00028742
	v_mfma_f32_16x16x16_f16 v[184:187], v[116:117], v[156:157], v[184:187]// 000000006C74: D3CD00B8 06E33974
	v_mov_b32_dpp v16, v64 quad_perm:[1,0,3,2] row_mask:0xf bank_mask:0xf// 000000006C7C: 7E2002FA FF00B140
	v_perm_b32 v56, v16, v64, v15                              // 000000006C84: D1ED0038 043E8110
	buffer_atomic_add_f32 v148, v7, s[32:35], 0 offen offset:256// 000000006C8C: E1341100 80089407
	v_mfma_f32_16x16x16_f16 v[188:191], v[118:119], v[156:157], v[188:191]// 000000006C94: D3CD00BC 06F33976
	v_mov_b32_dpp v16, v65 quad_perm:[1,0,3,2] row_mask:0xf bank_mask:0xf// 000000006C9C: 7E2002FA FF00B141
	v_perm_b32 v57, v16, v65, v15                              // 000000006CA4: D1ED0039 043E8310
	buffer_atomic_add_f32 v149, v8, s[32:35], 0 offen offset:256// 000000006CAC: E1341100 80089508
	v_mfma_f32_16x16x16_f16 v[192:195], v[120:121], v[156:157], v[192:195]// 000000006CB4: D3CD00C0 07033978
	ds_write_b32 v13, v68 offset:6528                          // 000000006CBC: D81A1980 0000440D
	ds_write_b32 v13, v69 offset:7584                          // 000000006CC4: D81A1DA0 0000450D
	v_mfma_f32_16x16x16_f16 v[196:199], v[122:123], v[156:157], v[196:199]// 000000006CCC: D3CD00C4 0713397A
	ds_write_b32 v18, v56 offset:26112                         // 000000006CD4: D81A6600 00003812
	ds_write_b32 v18, v57 offset:26656                         // 000000006CDC: D81A6820 00003912
	v_mfma_f32_16x16x16_f16 v[200:203], v[124:125], v[156:157], v[200:203]// 000000006CE4: D3CD00C8 0723397C
	ds_write_b32 v13, v70 offset:8704                          // 000000006CEC: D81A2200 0000460D
	ds_write_b32 v13, v71 offset:9760                          // 000000006CF4: D81A2620 0000470D
	v_mfma_f32_16x16x16_f16 v[204:207], v[126:127], v[156:157], v[204:207]// 000000006CFC: D3CD00CC 0733397E
	ds_write_b32 v13, v72 offset:10880                         // 000000006D04: D81A2A80 0000480D
	ds_write_b32 v13, v73 offset:11936                         // 000000006D0C: D81A2EA0 0000490D
	s_barrier                                                  // 000000006D14: BF8A0000
	v_mfma_f32_16x16x16_f16 a[96:99], a[72:73], v[64:65], a[96:99]// 000000006D18: D3CD8060 0D828148
	ds_read_b32 v128, v21 offset:41216                         // 000000006D20: D86CA100 80000015
	ds_read_b32 v158, v21 offset:41472                         // 000000006D28: D86CA200 9E000015
	v_mfma_f32_16x16x16_f16 a[100:103], a[74:75], v[64:65], a[100:103]// 000000006D30: D3CD8064 0D92814A
	buffer_atomic_add_f32 v150, v7, s[32:35], 0 offen offset:384// 000000006D38: E1341180 80089607
	buffer_atomic_add_f32 v151, v8, s[32:35], 0 offen offset:384// 000000006D40: E1341180 80089708
	v_mfma_f32_16x16x16_f16 a[104:107], a[76:77], v[64:65], a[104:107]// 000000006D48: D3CD8068 0DA2814C
	s_waitcnt lgkmcnt(6)                                       // 000000006D50: BF8CC67F
	s_barrier                                                  // 000000006D54: BF8A0000
	v_mfma_f32_16x16x16_f16 a[108:111], a[78:79], v[64:65], a[108:111]// 000000006D58: D3CD806C 0DB2814E
	s_mov_b64 exec, s[82:83]                                   // 000000006D60: BEFE0152
	buffer_atomic_add_f32 v152, v7, s[32:35], 0 offen offset:512// 000000006D64: E1341200 80089807
	s_mov_b32 exec_lo, -1                                      // 000000006D6C: BEFE00C1
	s_mov_b32 exec_hi, -1                                      // 000000006D70: BEFF00C1
	v_mfma_f32_16x16x16_f16 a[112:115], a[80:81], v[64:65], a[112:115]// 000000006D74: D3CD8070 0DC28150
	ds_read_b128 v[56:59], v17 offset:26112                    // 000000006D7C: D9FE6600 38000011
	v_mfma_f32_16x16x16_f16 a[116:119], a[82:83], v[64:65], a[116:119]// 000000006D84: D3CD8074 0DD28152
	s_mov_b64 exec, s[82:83]                                   // 000000006D8C: BEFE0152
	buffer_atomic_add_f32 v153, v8, s[32:35], 0 offen offset:512// 000000006D90: E1341200 80089908
	s_mov_b32 exec_lo, -1                                      // 000000006D98: BEFE00C1
	s_mov_b32 exec_hi, -1                                      // 000000006D9C: BEFF00C1
	v_mfma_f32_16x16x16_f16 a[120:123], a[84:85], v[64:65], a[120:123]// 000000006DA0: D3CD8078 0DE28154
	ds_read_b128 v[60:63], v17 offset:27264                    // 000000006DA8: D9FE6A80 3C000011
	v_mfma_f32_16x16x16_f16 a[124:127], a[86:87], v[64:65], a[124:127]// 000000006DB0: D3CD807C 0DF28156
	s_mov_b64 exec, s[92:93]                                   // 000000006DB8: BEFE015C
	buffer_atomic_add_f32 v154, v7, s[32:35], 0 offen offset:640// 000000006DBC: E1341280 80089A07
	s_mov_b32 exec_lo, -1                                      // 000000006DC4: BEFE00C1
	s_mov_b32 exec_hi, -1                                      // 000000006DC8: BEFF00C1
	v_mfma_f32_16x16x16_f16 a[128:131], a[88:89], v[64:65], a[128:131]// 000000006DCC: D3CD8080 0E028158
	ds_write_b32 v13, v74 offset:19584                         // 000000006DD4: D81A4C80 00004A0D
	ds_write_b32 v13, v75 offset:20640                         // 000000006DDC: D81A50A0 00004B0D
	v_mfma_f32_16x16x16_f16 a[132:135], a[90:91], v[64:65], a[132:135]// 000000006DE4: D3CD8084 0E12815A
	s_mov_b64 exec, s[92:93]                                   // 000000006DEC: BEFE015C
	buffer_atomic_add_f32 v155, v8, s[32:35], 0 offen offset:640// 000000006DF0: E1341280 80089B08
	s_mov_b32 exec_lo, -1                                      // 000000006DF8: BEFE00C1
	s_mov_b32 exec_hi, -1                                      // 000000006DFC: BEFF00C1
	v_mfma_f32_16x16x16_f16 a[136:139], a[92:93], v[64:65], a[136:139]// 000000006E00: D3CD8088 0E22815C
	ds_write_b32 v13, v76 offset:21760                         // 000000006E08: D81A5500 00004C0D
	ds_write_b32 v13, v77 offset:22816                         // 000000006E10: D81A5920 00004D0D
	v_mfma_f32_16x16x16_f16 a[140:143], a[94:95], v[64:65], a[140:143]// 000000006E18: D3CD808C 0E32815E
	ds_write_b32 v13, v78 offset:23936                         // 000000006E20: D81A5D80 00004E0D
	ds_write_b32 v13, v79 offset:24992                         // 000000006E28: D81A61A0 00004F0D
	s_waitcnt vmcnt(12) lgkmcnt(6)                             // 000000006E30: BF8C067C
	s_barrier                                                  // 000000006E34: BF8A0000
	v_mfma_f32_16x16x16_f16 v[132:135], v[56:57], a[24:25], 0  // 000000006E38: D3CD0084 12023138
	ds_read_b128 a[72:75], v10                                 // 000000006E40: DBFE0000 4800000A
	ds_read_b128 a[76:79], v10 offset:512                      // 000000006E48: DBFE0200 4C00000A
	ds_read_b128 a[80:83], v10 offset:2176                     // 000000006E50: DBFE0880 5000000A
	buffer_load_dword v38, v1, s[8:11], 0 idxen                // 000000006E58: E0502000 80022601
	buffer_load_dword v39, v2, s[8:11], 0 idxen                // 000000006E60: E0502000 80022702
	v_mfma_f32_16x16x16_f16 v[132:135], v[58:59], a[30:31], v[132:135]// 000000006E68: D3CD0084 16123D3A
	v_mul_f32_e32 v128, s48, v128                              // 000000006E70: 0B010030
	v_perm_b32 v68, v33, v32, s63                              // 000000006E74: D1ED0044 00FE4121
	v_perm_b32 v69, v33, v32, s64                              // 000000006E7C: D1ED0045 01024121
	v_perm_b32 v70, v35, v34, s63                              // 000000006E84: D1ED0046 00FE4523
	v_mfma_f32_16x16x16_f16 v[132:135], v[60:61], a[36:37], v[132:135]// 000000006E8C: D3CD0084 1612493C
	ds_read_b128 a[84:87], v10 offset:2688                     // 000000006E94: DBFE0A80 5400000A
	ds_read_b128 a[88:91], v10 offset:4352                     // 000000006E9C: DBFE1100 5800000A
	ds_read_b128 a[92:95], v10 offset:4864                     // 000000006EA4: DBFE1300 5C00000A
	buffer_load_dword v40, v1, s[8:11], 0 idxen offset:128     // 000000006EAC: E0502080 80022801
	buffer_load_dword v41, v2, s[8:11], 0 idxen offset:128     // 000000006EB4: E0502080 80022902
	v_mfma_f32_16x16x16_f16 v[132:135], v[62:63], a[42:43], v[132:135]// 000000006EBC: D3CD0084 1612553E
	v_perm_b32 v71, v35, v34, s64                              // 000000006EC4: D1ED0047 01024523
	v_perm_b32 v72, v37, v36, s63                              // 000000006ECC: D1ED0048 00FE4925
	v_perm_b32 v73, v37, v36, s64                              // 000000006ED4: D1ED0049 01024925
	v_mfma_f32_16x16x16_f16 v[136:139], v[56:57], a[26:27], 0  // 000000006EDC: D3CD0088 12023538
	ds_read_b128 v[80:83], v10 offset:13056                    // 000000006EE4: D9FE3300 5000000A
	ds_read_b128 v[84:87], v10 offset:13568                    // 000000006EEC: D9FE3500 5400000A
	ds_read_b128 v[88:91], v10 offset:15232                    // 000000006EF4: D9FE3B80 5800000A
	buffer_load_dword v50, v208, s[20:23], 0 idxen             // 000000006EFC: E0502000 800532D0
	buffer_load_dword v51, v209, s[20:23], 0 idxen             // 000000006F04: E0502000 800533D1
	v_mfma_f32_16x16x16_f16 v[136:139], v[58:59], a[32:33], v[136:139]// 000000006F0C: D3CD0088 1622413A
	v_perm_b32 v74, v45, v44, s63                              // 000000006F14: D1ED004A 00FE592D
	v_perm_b32 v75, v45, v44, s64                              // 000000006F1C: D1ED004B 0102592D
	v_perm_b32 v76, v47, v46, s63                              // 000000006F24: D1ED004C 00FE5D2F
	v_mov_b32_dpp v131, v128 quad_perm:[3,3,3,3] row_mask:0xf bank_mask:0xf// 000000006F2C: 7F0602FA FF00FF80
	v_mov_b32_dpp v130, v128 quad_perm:[2,2,2,2] row_mask:0xf bank_mask:0xf// 000000006F34: 7F0402FA FF00AA80
	v_mfma_f32_16x16x16_f16 v[136:139], v[60:61], a[38:39], v[136:139]// 000000006F3C: D3CD0088 16224D3C
	ds_read_b128 v[92:95], v10 offset:15744                    // 000000006F44: D9FE3D80 5C00000A
	ds_read_b128 v[96:99], v10 offset:17408                    // 000000006F4C: D9FE4400 6000000A
	ds_read_b128 v[100:103], v10 offset:17920                  // 000000006F54: D9FE4600 6400000A
	buffer_load_dword v52, v208, s[20:23], 0 idxen offset:128  // 000000006F5C: E0502080 800534D0
	buffer_load_dword v53, v209, s[20:23], 0 idxen offset:128  // 000000006F64: E0502080 800535D1
	v_mfma_f32_16x16x16_f16 v[136:139], v[62:63], a[44:45], v[136:139]// 000000006F6C: D3CD0088 1622593E
	v_perm_b32 v77, v47, v46, s64                              // 000000006F74: D1ED004D 01025D2F
	v_perm_b32 v78, v49, v48, s63                              // 000000006F7C: D1ED004E 00FE6131
	v_perm_b32 v79, v49, v48, s64                              // 000000006F84: D1ED004F 01026131
	v_mov_b32_dpp v129, v128 quad_perm:[1,1,1,1] row_mask:0xf bank_mask:0xf// 000000006F8C: 7F0202FA FF005580
	v_mov_b32_dpp v128, v128 quad_perm:[0,0,0,0] row_mask:0xf bank_mask:0xf// 000000006F94: 7F0002FA FF000080
	v_mfma_f32_16x16x16_f16 v[140:143], v[56:57], a[28:29], 0  // 000000006F9C: D3CD008C 12023938
	buffer_load_dword v9, s[24:27], 0 idxen lds                // 000000006FA4: E0512000 80060009
	v_mov_b32_e32 v42, 0                                       // 000000006FAC: 7E540280
	s_mov_b64 exec, s[80:81]                                   // 000000006FB0: BEFE0150
	buffer_load_dword v42, v1, s[8:11], 0 idxen offset:256     // 000000006FB4: E0502100 80022A01
	s_mov_b32 exec_lo, -1                                      // 000000006FBC: BEFE00C1
	s_mov_b32 exec_hi, -1                                      // 000000006FC0: BEFF00C1
	v_mov_b32_e32 v43, 0                                       // 000000006FC4: 7E560280
	s_mov_b64 exec, s[80:81]                                   // 000000006FC8: BEFE0150
	buffer_load_dword v43, v2, s[8:11], 0 idxen offset:256     // 000000006FCC: E0502100 80022B02
	s_mov_b32 exec_lo, -1                                      // 000000006FD4: BEFE00C1
	s_mov_b32 exec_hi, -1                                      // 000000006FD8: BEFF00C1
	v_mfma_f32_16x16x16_f16 v[140:143], v[58:59], a[34:35], v[140:143]// 000000006FDC: D3CD008C 1632453A
	s_add_u32 s60, 64, s59                                     // 000000006FE4: 803C3BC0
	s_cmp_lt_u32 s60, s58                                      // 000000006FE8: BF0A3A3C
	s_cselect_b32 s68, s68, 0                                  // 000000006FEC: 85448044
	s_cselect_b32 s100, s100, 0                                // 000000006FF0: 85648064
	s_cselect_b32 s69, s69, 0                                  // 000000006FF4: 85458045
	v_mfma_f32_16x16x16_f16 v[140:143], v[60:61], a[40:41], v[140:143]// 000000006FF8: D3CD008C 1632513C
	v_mov_b32_e32 v54, 0                                       // 000000007000: 7E6C0280
	s_mov_b64 exec, s[80:81]                                   // 000000007004: BEFE0150
	buffer_load_dword v54, v208, s[20:23], 0 idxen offset:256  // 000000007008: E0502100 800536D0
	s_mov_b32 exec_lo, -1                                      // 000000007010: BEFE00C1
	s_mov_b32 exec_hi, -1                                      // 000000007014: BEFF00C1
	v_mov_b32_e32 v55, 0                                       // 000000007018: 7E6E0280
	s_mov_b64 exec, s[80:81]                                   // 00000000701C: BEFE0150
	buffer_load_dword v55, v209, s[20:23], 0 idxen offset:256  // 000000007020: E0502100 800537D1
	s_mov_b32 exec_lo, -1                                      // 000000007028: BEFE00C1
	s_mov_b32 exec_hi, -1                                      // 00000000702C: BEFF00C1
	v_add_u32_e32 v1, s68, v1                                  // 000000007030: 68020244
	v_add_u32_e32 v2, s68, v2                                  // 000000007034: 68040444
	v_add_u32_e32 v208, s100, v208                             // 000000007038: 69A1A064
	v_add_u32_e32 v209, s100, v209                             // 00000000703C: 69A3A264
	s_mov_b32 m0, s78                                          // 000000007040: BEFC004E
	v_add_u32_e32 v9, s69, v9                                  // 000000007044: 68121245
	v_mfma_f32_16x16x16_f16 v[140:143], v[62:63], a[46:47], v[140:143]// 000000007048: D3CD008C 16325D3E
	s_cmp_ge_u32 s59, s73                                      // 000000007050: BF09493B
	s_cselect_b32 s66, s67, s66                                // 000000007054: 85424243
	s_addk_i32 s59, 0x10                                       // 000000007058: B73B0010
	s_nop 0                                                    // 00000000705C: BF800000
	s_cmp_lt_i32 s59, s58                                      // 000000007060: BF043A3B
	s_cbranch_scc0 label_0A2D                                  // 000000007064: BF84FE13
	s_waitcnt lgkmcnt(0)                                       // 000000007068: BF8CC07F
	s_barrier                                                  // 00000000706C: BF8A0000
	v_mfma_f32_16x16x16_f16 v[56:59], a[72:73], a[0:1], 0      // 000000007070: D3CD0038 1A020148
	v_mul_f32_e32 v132, s47, v132                              // 000000007078: 0B09082F
	v_mul_f32_e32 v133, s47, v133                              // 00000000707C: 0B0B0A2F
	v_mul_f32_e32 v134, s47, v134                              // 000000007080: 0B0D0C2F
	v_mul_f32_e32 v135, s47, v135                              // 000000007084: 0B0F0E2F
	v_mfma_f32_16x16x16_f16 v[56:59], a[74:75], a[2:3], v[56:59]// 000000007088: D3CD0038 1CE2054A
	ds_write_b32 v11, v44 offset:13056                         // 000000007090: D81A3300 00002C0B
	ds_write_b32 v11, v45 offset:14112                         // 000000007098: D81A3720 00002D0B
	ds_write_b32 v11, v46 offset:15232                         // 0000000070A0: D81A3B80 00002E0B
	v_mfma_f32_16x16x16_f16 v[56:59], a[76:77], a[4:5], v[56:59]// 0000000070A8: D3CD0038 1CE2094C
	v_mul_f32_e32 v136, s47, v136                              // 0000000070B0: 0B11102F
	v_mul_f32_e32 v137, s47, v137                              // 0000000070B4: 0B13122F
	v_mul_f32_e32 v138, s47, v138                              // 0000000070B8: 0B15142F
	v_mul_f32_e32 v139, s47, v139                              // 0000000070BC: 0B17162F
	v_mfma_f32_16x16x16_f16 v[56:59], a[78:79], a[6:7], v[56:59]// 0000000070C0: D3CD0038 1CE20D4E
	ds_write_b32 v11, v47 offset:16288                         // 0000000070C8: D81A3FA0 00002F0B
	ds_write_b32 v11, v48 offset:17408                         // 0000000070D0: D81A4400 0000300B
	ds_write_b32 v11, v49 offset:18464                         // 0000000070D8: D81A4820 0000310B
	v_mfma_f32_16x16x16_f16 v[56:59], a[80:81], a[8:9], v[56:59]// 0000000070E0: D3CD0038 1CE21150
	v_mul_f32_e32 v140, s47, v140                              // 0000000070E8: 0B19182F
	v_mul_f32_e32 v141, s47, v141                              // 0000000070EC: 0B1B1A2F
	v_mul_f32_e32 v142, s47, v142                              // 0000000070F0: 0B1D1C2F
	v_mul_f32_e32 v143, s47, v143                              // 0000000070F4: 0B1F1E2F
	v_mfma_f32_16x16x16_f16 v[56:59], a[82:83], a[10:11], v[56:59]// 0000000070F8: D3CD0038 1CE21552
	ds_write_b64 v20, v[132:133] offset:28416                  // 000000007100: D89A6F00 00008414
	ds_write_b64 v20, v[134:135] offset:28928                  // 000000007108: D89A7100 00008614
	v_mfma_f32_16x16x16_f16 v[56:59], a[84:85], a[12:13], v[56:59]// 000000007110: D3CD0038 1CE21954
	ds_write_b64 v20, v[136:137] offset:29440                  // 000000007118: D89A7300 00008814
	ds_write_b64 v20, v[138:139] offset:29952                  // 000000007120: D89A7500 00008A14
	v_mfma_f32_16x16x16_f16 v[56:59], a[86:87], a[14:15], v[56:59]// 000000007128: D3CD0038 1CE21D56
	ds_write_b64 v20, v[140:141] offset:30464                  // 000000007130: D89A7700 00008C14
	ds_write_b64 v20, v[142:143] offset:30976                  // 000000007138: D89A7900 00008E14
	v_mfma_f32_16x16x16_f16 v[56:59], a[88:89], a[16:17], v[56:59]// 000000007140: D3CD0038 1CE22158
	ds_read_b128 v[104:107], v12 offset:19584                  // 000000007148: D9FE4C80 6800000C
	v_mfma_f32_16x16x16_f16 v[56:59], a[90:91], a[18:19], v[56:59]// 000000007150: D3CD0038 1CE2255A
	ds_read_b128 v[108:111], v12 offset:20096                  // 000000007158: D9FE4E80 6C00000C
	v_mfma_f32_16x16x16_f16 v[56:59], a[92:93], a[20:21], v[56:59]// 000000007160: D3CD0038 1CE2295C
	ds_read_b128 v[112:115], v12 offset:21760                  // 000000007168: D9FE5500 7000000C
	ds_read_b128 v[116:119], v12 offset:22272                  // 000000007170: D9FE5700 7400000C
	v_mfma_f32_16x16x16_f16 v[56:59], a[94:95], a[22:23], v[56:59]// 000000007178: D3CD0038 1CE22D5E
	ds_read_b128 v[120:123], v12 offset:23936                  // 000000007180: D9FE5D80 7800000C
	ds_read_b128 v[124:127], v12 offset:24448                  // 000000007188: D9FE5F80 7C00000C
	s_cmp_eq_i32 s44, 0                                        // 000000007190: BF00802C
	s_cbranch_scc1 label_0C8C                                  // 000000007194: BF850026
	s_cmp_lt_i32 s74, 4                                        // 000000007198: BF04844A
	s_cbranch_scc0 label_0C7B                                  // 00000000719C: BF840013
	s_lshl_b32 s60, s74, 4                                     // 0000000071A0: 8E3C844A
	v_sub_i32 v28, v210, s60                                   // 0000000071A4: D29D001C 000079D2
	v_cmp_gt_i32_e64 s[60:61], v28, 0                          // 0000000071AC: D0C4003C 0001011C
	v_cmp_gt_i32_e64 s[70:71], v28, 1                          // 0000000071B4: D0C40046 0001031C
	v_cndmask_b32_e64 v56, v56, v159, s[60:61]                 // 0000000071BC: D1000038 00F33F38
	v_cndmask_b32_e64 v57, v57, v159, s[70:71]                 // 0000000071C4: D1000039 011B3F39
	v_cmp_gt_i32_e64 s[60:61], v28, 2                          // 0000000071CC: D0C4003C 0001051C
	v_cmp_gt_i32_e64 s[70:71], v28, 3                          // 0000000071D4: D0C40046 0001071C
	v_cndmask_b32_e64 v58, v58, v159, s[60:61]                 // 0000000071DC: D100003A 00F33F3A
	v_cndmask_b32_e64 v59, v59, v159, s[70:71]                 // 0000000071E4: D100003B 011B3F3B

00000000000071ec <label_0C7B>:
	s_cmp_lt_i32 s84, 64                                       // 0000000071EC: BF04C054
	s_cbranch_scc0 label_0C8C                                  // 0000000071F0: BF84000F
	v_and_b32_e32 v28, 15, v0                                  // 0000000071F4: 2638008F
	v_mul_i32_i24_e64 v29, s46, 16                             // 0000000071F8: D106001D 0001202E
	v_add_u32_e32 v28, v28, v29                                // 000000007200: 68383B1C
	v_cmp_lt_u32_e64 s[60:61], v28, s84                        // 000000007204: D0C9003C 0000A91C
	s_nop 1                                                    // 00000000720C: BF800001
	v_cndmask_b32_e64 v56, v159, v56, s[60:61]                 // 000000007210: D1000038 00F2719F
	v_cndmask_b32_e64 v57, v159, v57, s[60:61]                 // 000000007218: D1000039 00F2739F
	v_cndmask_b32_e64 v58, v159, v58, s[60:61]                 // 000000007220: D100003A 00F2759F
	v_cndmask_b32_e64 v59, v159, v59, s[60:61]                 // 000000007228: D100003B 00F2779F

0000000000007230 <label_0C8C>:
	s_addk_i32 s74, 0x1                                        // 000000007230: B74A0001
	s_waitcnt lgkmcnt(6)                                       // 000000007234: BF8CC67F
	s_barrier                                                  // 000000007238: BF8A0000
	v_mfma_f32_16x16x16_f16 v[64:67], v[80:81], a[48:49], 0    // 00000000723C: D3CD0040 12026150
	v_fma_f32 v56, v56, s57, -v128                             // 000000007244: D1CB0038 86007338
	v_fma_f32 v57, v57, s57, -v129                             // 00000000724C: D1CB0039 86047339
	v_fma_f32 v58, v58, s57, -v130                             // 000000007254: D1CB003A 8608733A
	v_fma_f32 v59, v59, s57, -v131                             // 00000000725C: D1CB003B 860C733B
	v_mfma_f32_16x16x16_f16 v[64:67], v[82:83], a[50:51], v[64:67]// 000000007264: D3CD0040 15026552
	ds_read_b128 a[72:75], v12 offset:6528                     // 00000000726C: DBFE1980 4800000C
	ds_read_b128 a[76:79], v12 offset:7040                     // 000000007274: DBFE1B80 4C00000C
	ds_write_b32 v11, v32                                      // 00000000727C: D81A0000 0000200B
	ds_write_b32 v11, v33 offset:1056                          // 000000007284: D81A0420 0000210B
	v_mfma_f32_16x16x16_f16 v[64:67], v[84:85], a[52:53], v[64:67]// 00000000728C: D3CD0040 15026954
	v_exp_f32_e32 v56, v56                                     // 000000007294: 7E704138
	v_mfma_f32_16x16x16_f16 v[64:67], v[86:87], a[54:55], v[64:67]// 000000007298: D3CD0040 15026D56
	ds_read_b128 a[80:83], v12 offset:8704                     // 0000000072A0: DBFE2200 5000000C
	ds_read_b128 a[84:87], v12 offset:9216                     // 0000000072A8: DBFE2400 5400000C
	ds_write_b32 v11, v34 offset:2176                          // 0000000072B0: D81A0880 0000220B
	v_mfma_f32_16x16x16_f16 v[64:67], v[88:89], a[56:57], v[64:67]// 0000000072B8: D3CD0040 15027158
	v_exp_f32_e32 v57, v57                                     // 0000000072C0: 7E724139
	v_mfma_f32_16x16x16_f16 v[64:67], v[90:91], a[58:59], v[64:67]// 0000000072C4: D3CD0040 1502755A
	ds_read_b128 a[88:91], v12 offset:10880                    // 0000000072CC: DBFE2A80 5800000C
	ds_read_b128 a[92:95], v12 offset:11392                    // 0000000072D4: DBFE2C80 5C00000C
	ds_write_b32 v11, v35 offset:3232                          // 0000000072DC: D81A0CA0 0000230B
	v_mfma_f32_16x16x16_f16 v[64:67], v[92:93], a[60:61], v[64:67]// 0000000072E4: D3CD0040 1502795C
	v_exp_f32_e32 v58, v58                                     // 0000000072EC: 7E74413A
	v_mfma_f32_16x16x16_f16 v[64:67], v[94:95], a[62:63], v[64:67]// 0000000072F0: D3CD0040 15027D5E
	ds_read_b64 v[144:145], v19 offset:28416                   // 0000000072F8: D8EC6F00 90000013
	ds_read_b64 v[146:147], v19 offset:30464                   // 000000007300: D8EC7700 92000013
	ds_read_b64 v[148:149], v19 offset:32512                   // 000000007308: D8EC7F00 94000013
	ds_write_b32 v11, v36 offset:4352                          // 000000007310: D81A1100 0000240B
	v_mfma_f32_16x16x16_f16 v[64:67], v[96:97], a[64:65], v[64:67]// 000000007318: D3CD0040 15028160
	v_exp_f32_e32 v59, v59                                     // 000000007320: 7E76413B
	v_mfma_f32_16x16x16_f16 v[64:67], v[98:99], a[66:67], v[64:67]// 000000007324: D3CD0040 15028562
	ds_read_b64 v[150:151], v19 offset:34560                   // 00000000732C: D8EC8700 96000013
	ds_read_b64 v[152:153], v19 offset:36608                   // 000000007334: D8EC8F00 98000013
	ds_read_b64 v[154:155], v19 offset:38656                   // 00000000733C: D8EC9700 9A000013
	ds_write_b32 v11, v37 offset:5408                          // 000000007344: D81A1520 0000250B
	v_mfma_f32_16x16x16_f16 v[64:67], v[100:101], a[68:69], v[64:67]// 00000000734C: D3CD0040 15028964
	v_cvt_pkrtz_f16_f32 v156, v56, v57                         // 000000007354: D296009C 00027338
	v_mfma_f32_16x16x16_f16 v[64:67], v[102:103], a[70:71], v[64:67]// 00000000735C: D3CD0040 15028D66
	v_cvt_pkrtz_f16_f32 v157, v58, v59                         // 000000007364: D296009D 0002773A
	v_add_u32_e32 v7, s66, v7                                  // 00000000736C: 680E0E42
	v_add_u32_e32 v8, s66, v8                                  // 000000007370: 68101042
	s_waitcnt lgkmcnt(0)                                       // 000000007374: BF8CC07F
	s_barrier                                                  // 000000007378: BF8A0000
	v_mfma_f32_16x16x16_f16 v[160:163], v[104:105], v[156:157], v[160:163]// 00000000737C: D3CD00A0 06833968
	v_subrev_f32_dpp v64, v158, v64 quad_perm:[0,0,0,0] row_mask:0xf bank_mask:0xf// 000000007384: 068080FA FF00009E
	v_subrev_f32_dpp v65, v158, v65 quad_perm:[1,1,1,1] row_mask:0xf bank_mask:0xf// 00000000738C: 068282FA FF00559E
	buffer_atomic_add_f32 v144, v7, s[32:35], 0 offen          // 000000007394: E1341000 80089007
	v_mfma_f32_16x16x16_f16 v[164:167], v[106:107], v[156:157], v[164:167]// 00000000739C: D3CD00A4 0693396A
	v_subrev_f32_dpp v66, v158, v66 quad_perm:[2,2,2,2] row_mask:0xf bank_mask:0xf// 0000000073A4: 068484FA FF00AA9E
	v_subrev_f32_dpp v67, v158, v67 quad_perm:[3,3,3,3] row_mask:0xf bank_mask:0xf// 0000000073AC: 068686FA FF00FF9E
	buffer_atomic_add_f32 v145, v8, s[32:35], 0 offen          // 0000000073B4: E1341000 80089108
	v_mfma_f32_16x16x16_f16 v[168:171], v[108:109], v[156:157], v[168:171]// 0000000073BC: D3CD00A8 06A3396C
	v_mul_f32_e32 v64, v56, v64                                // 0000000073C4: 0A808138
	v_mul_f32_e32 v65, v57, v65                                // 0000000073C8: 0A828339
	buffer_atomic_add_f32 v146, v7, s[32:35], 0 offen offset:128// 0000000073CC: E1341080 80089207
	v_mfma_f32_16x16x16_f16 v[172:175], v[110:111], v[156:157], v[172:175]// 0000000073D4: D3CD00AC 06B3396E
	v_mul_f32_e32 v66, v58, v66                                // 0000000073DC: 0A84853A
	v_mul_f32_e32 v67, v59, v67                                // 0000000073E0: 0A86873B
	buffer_atomic_add_f32 v147, v8, s[32:35], 0 offen offset:128// 0000000073E4: E1341080 80089308
	v_mfma_f32_16x16x16_f16 v[176:179], v[112:113], v[156:157], v[176:179]// 0000000073EC: D3CD00B0 06C33970
	v_cvt_pkrtz_f16_f32 v64, v64, v65                          // 0000000073F4: D2960040 00028340
	v_mfma_f32_16x16x16_f16 v[180:183], v[114:115], v[156:157], v[180:183]// 0000000073FC: D3CD00B4 06D33972
	v_cvt_pkrtz_f16_f32 v65, v66, v67                          // 000000007404: D2960041 00028742
	v_mfma_f32_16x16x16_f16 v[184:187], v[116:117], v[156:157], v[184:187]// 00000000740C: D3CD00B8 06E33974
	v_mov_b32_dpp v16, v64 quad_perm:[1,0,3,2] row_mask:0xf bank_mask:0xf// 000000007414: 7E2002FA FF00B140
	v_perm_b32 v56, v16, v64, v15                              // 00000000741C: D1ED0038 043E8110
	buffer_atomic_add_f32 v148, v7, s[32:35], 0 offen offset:256// 000000007424: E1341100 80089407
	v_mfma_f32_16x16x16_f16 v[188:191], v[118:119], v[156:157], v[188:191]// 00000000742C: D3CD00BC 06F33976
	v_mov_b32_dpp v16, v65 quad_perm:[1,0,3,2] row_mask:0xf bank_mask:0xf// 000000007434: 7E2002FA FF00B141
	v_perm_b32 v57, v16, v65, v15                              // 00000000743C: D1ED0039 043E8310
	buffer_atomic_add_f32 v149, v8, s[32:35], 0 offen offset:256// 000000007444: E1341100 80089508
	v_mfma_f32_16x16x16_f16 v[192:195], v[120:121], v[156:157], v[192:195]// 00000000744C: D3CD00C0 07033978
	ds_write_b32 v13, v68 offset:6528                          // 000000007454: D81A1980 0000440D
	ds_write_b32 v13, v69 offset:7584                          // 00000000745C: D81A1DA0 0000450D
	v_mfma_f32_16x16x16_f16 v[196:199], v[122:123], v[156:157], v[196:199]// 000000007464: D3CD00C4 0713397A
	ds_write_b32 v18, v56 offset:26112                         // 00000000746C: D81A6600 00003812
	ds_write_b32 v18, v57 offset:26656                         // 000000007474: D81A6820 00003912
	v_mfma_f32_16x16x16_f16 v[200:203], v[124:125], v[156:157], v[200:203]// 00000000747C: D3CD00C8 0723397C
	ds_write_b32 v13, v70 offset:8704                          // 000000007484: D81A2200 0000460D
	ds_write_b32 v13, v71 offset:9760                          // 00000000748C: D81A2620 0000470D
	v_mfma_f32_16x16x16_f16 v[204:207], v[126:127], v[156:157], v[204:207]// 000000007494: D3CD00CC 0733397E
	ds_write_b32 v13, v72 offset:10880                         // 00000000749C: D81A2A80 0000480D
	ds_write_b32 v13, v73 offset:11936                         // 0000000074A4: D81A2EA0 0000490D
	s_barrier                                                  // 0000000074AC: BF8A0000
	v_mfma_f32_16x16x16_f16 a[96:99], a[72:73], v[64:65], a[96:99]// 0000000074B0: D3CD8060 0D828148
	ds_read_b32 v128, v21 offset:40704                         // 0000000074B8: D86C9F00 80000015
	ds_read_b32 v158, v21 offset:40960                         // 0000000074C0: D86CA000 9E000015
	v_mfma_f32_16x16x16_f16 a[100:103], a[74:75], v[64:65], a[100:103]// 0000000074C8: D3CD8064 0D92814A
	buffer_atomic_add_f32 v150, v7, s[32:35], 0 offen offset:384// 0000000074D0: E1341180 80089607
	buffer_atomic_add_f32 v151, v8, s[32:35], 0 offen offset:384// 0000000074D8: E1341180 80089708
	v_mfma_f32_16x16x16_f16 a[104:107], a[76:77], v[64:65], a[104:107]// 0000000074E0: D3CD8068 0DA2814C
	s_waitcnt lgkmcnt(6)                                       // 0000000074E8: BF8CC67F
	s_barrier                                                  // 0000000074EC: BF8A0000
	v_mfma_f32_16x16x16_f16 a[108:111], a[78:79], v[64:65], a[108:111]// 0000000074F0: D3CD806C 0DB2814E
	s_mov_b64 exec, s[82:83]                                   // 0000000074F8: BEFE0152
	buffer_atomic_add_f32 v152, v7, s[32:35], 0 offen offset:512// 0000000074FC: E1341200 80089807
	s_mov_b32 exec_lo, -1                                      // 000000007504: BEFE00C1
	s_mov_b32 exec_hi, -1                                      // 000000007508: BEFF00C1
	v_mfma_f32_16x16x16_f16 a[112:115], a[80:81], v[64:65], a[112:115]// 00000000750C: D3CD8070 0DC28150
	ds_read_b128 v[56:59], v17 offset:26112                    // 000000007514: D9FE6600 38000011
	v_mfma_f32_16x16x16_f16 a[116:119], a[82:83], v[64:65], a[116:119]// 00000000751C: D3CD8074 0DD28152
	s_mov_b64 exec, s[82:83]                                   // 000000007524: BEFE0152
	buffer_atomic_add_f32 v153, v8, s[32:35], 0 offen offset:512// 000000007528: E1341200 80089908
	s_mov_b32 exec_lo, -1                                      // 000000007530: BEFE00C1
	s_mov_b32 exec_hi, -1                                      // 000000007534: BEFF00C1
	v_mfma_f32_16x16x16_f16 a[120:123], a[84:85], v[64:65], a[120:123]// 000000007538: D3CD8078 0DE28154
	ds_read_b128 v[60:63], v17 offset:27264                    // 000000007540: D9FE6A80 3C000011
	v_mfma_f32_16x16x16_f16 a[124:127], a[86:87], v[64:65], a[124:127]// 000000007548: D3CD807C 0DF28156
	s_mov_b64 exec, s[92:93]                                   // 000000007550: BEFE015C
	buffer_atomic_add_f32 v154, v7, s[32:35], 0 offen offset:640// 000000007554: E1341280 80089A07
	s_mov_b32 exec_lo, -1                                      // 00000000755C: BEFE00C1
	s_mov_b32 exec_hi, -1                                      // 000000007560: BEFF00C1
	v_mfma_f32_16x16x16_f16 a[128:131], a[88:89], v[64:65], a[128:131]// 000000007564: D3CD8080 0E028158
	ds_write_b32 v13, v74 offset:19584                         // 00000000756C: D81A4C80 00004A0D
	ds_write_b32 v13, v75 offset:20640                         // 000000007574: D81A50A0 00004B0D
	v_mfma_f32_16x16x16_f16 a[132:135], a[90:91], v[64:65], a[132:135]// 00000000757C: D3CD8084 0E12815A
	s_mov_b64 exec, s[92:93]                                   // 000000007584: BEFE015C
	buffer_atomic_add_f32 v155, v8, s[32:35], 0 offen offset:640// 000000007588: E1341280 80089B08
	s_mov_b32 exec_lo, -1                                      // 000000007590: BEFE00C1
	s_mov_b32 exec_hi, -1                                      // 000000007594: BEFF00C1
	v_mfma_f32_16x16x16_f16 a[136:139], a[92:93], v[64:65], a[136:139]// 000000007598: D3CD8088 0E22815C
	ds_write_b32 v13, v76 offset:21760                         // 0000000075A0: D81A5500 00004C0D
	ds_write_b32 v13, v77 offset:22816                         // 0000000075A8: D81A5920 00004D0D
	v_mfma_f32_16x16x16_f16 a[140:143], a[94:95], v[64:65], a[140:143]// 0000000075B0: D3CD808C 0E32815E
	ds_write_b32 v13, v78 offset:23936                         // 0000000075B8: D81A5D80 00004E0D
	ds_write_b32 v13, v79 offset:24992                         // 0000000075C0: D81A61A0 00004F0D
	s_waitcnt vmcnt(12) lgkmcnt(6)                             // 0000000075C8: BF8C067C
	s_barrier                                                  // 0000000075CC: BF8A0000
	v_mfma_f32_16x16x16_f16 v[132:135], v[56:57], a[24:25], 0  // 0000000075D0: D3CD0084 12023138
	ds_read_b128 a[72:75], v10                                 // 0000000075D8: DBFE0000 4800000A
	ds_read_b128 a[76:79], v10 offset:512                      // 0000000075E0: DBFE0200 4C00000A
	ds_read_b128 a[80:83], v10 offset:2176                     // 0000000075E8: DBFE0880 5000000A
	buffer_load_dword v32, v1, s[8:11], 0 idxen                // 0000000075F0: E0502000 80022001
	buffer_load_dword v33, v2, s[8:11], 0 idxen                // 0000000075F8: E0502000 80022102
	v_mfma_f32_16x16x16_f16 v[132:135], v[58:59], a[30:31], v[132:135]// 000000007600: D3CD0084 16123D3A
	v_mul_f32_e32 v128, s48, v128                              // 000000007608: 0B010030
	v_perm_b32 v68, v39, v38, s63                              // 00000000760C: D1ED0044 00FE4D27
	v_perm_b32 v69, v39, v38, s64                              // 000000007614: D1ED0045 01024D27
	v_perm_b32 v70, v41, v40, s63                              // 00000000761C: D1ED0046 00FE5129
	v_mfma_f32_16x16x16_f16 v[132:135], v[60:61], a[36:37], v[132:135]// 000000007624: D3CD0084 1612493C
	ds_read_b128 a[84:87], v10 offset:2688                     // 00000000762C: DBFE0A80 5400000A
	ds_read_b128 a[88:91], v10 offset:4352                     // 000000007634: DBFE1100 5800000A
	ds_read_b128 a[92:95], v10 offset:4864                     // 00000000763C: DBFE1300 5C00000A
	buffer_load_dword v34, v1, s[8:11], 0 idxen offset:128     // 000000007644: E0502080 80022201
	buffer_load_dword v35, v2, s[8:11], 0 idxen offset:128     // 00000000764C: E0502080 80022302
	v_mfma_f32_16x16x16_f16 v[132:135], v[62:63], a[42:43], v[132:135]// 000000007654: D3CD0084 1612553E
	v_perm_b32 v71, v41, v40, s64                              // 00000000765C: D1ED0047 01025129
	v_perm_b32 v72, v43, v42, s63                              // 000000007664: D1ED0048 00FE552B
	v_perm_b32 v73, v43, v42, s64                              // 00000000766C: D1ED0049 0102552B
	v_mfma_f32_16x16x16_f16 v[136:139], v[56:57], a[26:27], 0  // 000000007674: D3CD0088 12023538
	ds_read_b128 v[80:83], v10 offset:13056                    // 00000000767C: D9FE3300 5000000A
	ds_read_b128 v[84:87], v10 offset:13568                    // 000000007684: D9FE3500 5400000A
	ds_read_b128 v[88:91], v10 offset:15232                    // 00000000768C: D9FE3B80 5800000A
	buffer_load_dword v44, v208, s[20:23], 0 idxen             // 000000007694: E0502000 80052CD0
	buffer_load_dword v45, v209, s[20:23], 0 idxen             // 00000000769C: E0502000 80052DD1
	v_mfma_f32_16x16x16_f16 v[136:139], v[58:59], a[32:33], v[136:139]// 0000000076A4: D3CD0088 1622413A
	v_perm_b32 v74, v51, v50, s63                              // 0000000076AC: D1ED004A 00FE6533
	v_perm_b32 v75, v51, v50, s64                              // 0000000076B4: D1ED004B 01026533
	v_perm_b32 v76, v53, v52, s63                              // 0000000076BC: D1ED004C 00FE6935
	v_mov_b32_dpp v131, v128 quad_perm:[3,3,3,3] row_mask:0xf bank_mask:0xf// 0000000076C4: 7F0602FA FF00FF80
	v_mov_b32_dpp v130, v128 quad_perm:[2,2,2,2] row_mask:0xf bank_mask:0xf// 0000000076CC: 7F0402FA FF00AA80
	v_mfma_f32_16x16x16_f16 v[136:139], v[60:61], a[38:39], v[136:139]// 0000000076D4: D3CD0088 16224D3C
	ds_read_b128 v[92:95], v10 offset:15744                    // 0000000076DC: D9FE3D80 5C00000A
	ds_read_b128 v[96:99], v10 offset:17408                    // 0000000076E4: D9FE4400 6000000A
	ds_read_b128 v[100:103], v10 offset:17920                  // 0000000076EC: D9FE4600 6400000A
	buffer_load_dword v46, v208, s[20:23], 0 idxen offset:128  // 0000000076F4: E0502080 80052ED0
	buffer_load_dword v47, v209, s[20:23], 0 idxen offset:128  // 0000000076FC: E0502080 80052FD1
	v_mfma_f32_16x16x16_f16 v[136:139], v[62:63], a[44:45], v[136:139]// 000000007704: D3CD0088 1622593E
	v_perm_b32 v77, v53, v52, s64                              // 00000000770C: D1ED004D 01026935
	v_perm_b32 v78, v55, v54, s63                              // 000000007714: D1ED004E 00FE6D37
	v_perm_b32 v79, v55, v54, s64                              // 00000000771C: D1ED004F 01026D37
	v_mov_b32_dpp v129, v128 quad_perm:[1,1,1,1] row_mask:0xf bank_mask:0xf// 000000007724: 7F0202FA FF005580
	v_mov_b32_dpp v128, v128 quad_perm:[0,0,0,0] row_mask:0xf bank_mask:0xf// 00000000772C: 7F0002FA FF000080
	v_mfma_f32_16x16x16_f16 v[140:143], v[56:57], a[28:29], 0  // 000000007734: D3CD008C 12023938
	buffer_load_dword v9, s[24:27], 0 idxen lds                // 00000000773C: E0512000 80060009
	v_mov_b32_e32 v36, 0                                       // 000000007744: 7E480280
	s_mov_b64 exec, s[80:81]                                   // 000000007748: BEFE0150
	buffer_load_dword v36, v1, s[8:11], 0 idxen offset:256     // 00000000774C: E0502100 80022401
	s_mov_b32 exec_lo, -1                                      // 000000007754: BEFE00C1
	s_mov_b32 exec_hi, -1                                      // 000000007758: BEFF00C1
	v_mov_b32_e32 v37, 0                                       // 00000000775C: 7E4A0280
	s_mov_b64 exec, s[80:81]                                   // 000000007760: BEFE0150
	buffer_load_dword v37, v2, s[8:11], 0 idxen offset:256     // 000000007764: E0502100 80022502
	s_mov_b32 exec_lo, -1                                      // 00000000776C: BEFE00C1
	s_mov_b32 exec_hi, -1                                      // 000000007770: BEFF00C1
	v_mfma_f32_16x16x16_f16 v[140:143], v[58:59], a[34:35], v[140:143]// 000000007774: D3CD008C 1632453A
	s_add_u32 s60, 64, s59                                     // 00000000777C: 803C3BC0
	s_cmp_lt_u32 s60, s58                                      // 000000007780: BF0A3A3C
	s_cselect_b32 s68, s68, 0                                  // 000000007784: 85448044
	s_cselect_b32 s100, s100, 0                                // 000000007788: 85648064
	s_cselect_b32 s69, s69, 0                                  // 00000000778C: 85458045
	v_mfma_f32_16x16x16_f16 v[140:143], v[60:61], a[40:41], v[140:143]// 000000007790: D3CD008C 1632513C
	v_mov_b32_e32 v48, 0                                       // 000000007798: 7E600280
	s_mov_b64 exec, s[80:81]                                   // 00000000779C: BEFE0150
	buffer_load_dword v48, v208, s[20:23], 0 idxen offset:256  // 0000000077A0: E0502100 800530D0
	s_mov_b32 exec_lo, -1                                      // 0000000077A8: BEFE00C1
	s_mov_b32 exec_hi, -1                                      // 0000000077AC: BEFF00C1
	v_mov_b32_e32 v49, 0                                       // 0000000077B0: 7E620280
	s_mov_b64 exec, s[80:81]                                   // 0000000077B4: BEFE0150
	buffer_load_dword v49, v209, s[20:23], 0 idxen offset:256  // 0000000077B8: E0502100 800531D1
	s_mov_b32 exec_lo, -1                                      // 0000000077C0: BEFE00C1
	s_mov_b32 exec_hi, -1                                      // 0000000077C4: BEFF00C1
	v_add_u32_e32 v1, s68, v1                                  // 0000000077C8: 68020244
	v_add_u32_e32 v2, s68, v2                                  // 0000000077CC: 68040444
	v_add_u32_e32 v208, s100, v208                             // 0000000077D0: 69A1A064
	v_add_u32_e32 v209, s100, v209                             // 0000000077D4: 69A3A264
	s_mov_b32 m0, s79                                          // 0000000077D8: BEFC004F
	v_add_u32_e32 v9, s69, v9                                  // 0000000077DC: 68121245
	v_mfma_f32_16x16x16_f16 v[140:143], v[62:63], a[46:47], v[140:143]// 0000000077E0: D3CD008C 16325D3E
	s_cmp_ge_u32 s59, s73                                      // 0000000077E8: BF09493B
	s_cselect_b32 s66, s67, s66                                // 0000000077EC: 85424243
	s_addk_i32 s59, 0x10                                       // 0000000077F0: B73B0010
	s_nop 0                                                    // 0000000077F4: BF800000
	s_cmp_lt_i32 s59, s58                                      // 0000000077F8: BF043A3B
	s_cbranch_scc0 label_0A2D                                  // 0000000077FC: BF84FC2D
	s_branch label_0A34                                        // 000000007800: BF82FC33

0000000000007804 <label_0E01>:
	v_add_u32_e32 v7, s66, v7                                  // 000000007804: 680E0E42
	v_add_u32_e32 v8, s66, v8                                  // 000000007808: 68101042
	v_lshrrev_b32_e32 v28, 5, v0                               // 00000000780C: 20380085
	v_mul_i32_i24_e32 v25, 0x44, v28                           // 000000007810: 0C3238FF 00000044
	v_and_b32_e32 v28, 31, v0                                  // 000000007818: 2638009F
	v_mul_i32_i24_e32 v29, 2, v28                              // 00000000781C: 0C3A3882
	v_add_u32_e32 v25, v29, v25                                // 000000007820: 6832331D
	s_mul_i32 s60, s46, 0x660                                  // 000000007824: 923CFF2E 00000660
	v_add_u32_e32 v25, s60, v25                                // 00000000782C: 6832323C
	v_lshlrev_b32_e32 v25, 2, v25                              // 000000007830: 24323282
	v_mul_f32_e32 v132, s47, v132                              // 000000007834: 0B09082F
	v_mul_f32_e32 v133, s47, v133                              // 000000007838: 0B0B0A2F
	v_mul_f32_e32 v134, s47, v134                              // 00000000783C: 0B0D0C2F
	v_mul_f32_e32 v135, s47, v135                              // 000000007840: 0B0F0E2F
	v_mul_f32_e32 v136, s47, v136                              // 000000007844: 0B11102F
	v_mul_f32_e32 v137, s47, v137                              // 000000007848: 0B13122F
	v_mul_f32_e32 v138, s47, v138                              // 00000000784C: 0B15142F
	v_mul_f32_e32 v139, s47, v139                              // 000000007850: 0B17162F
	v_mul_f32_e32 v140, s47, v140                              // 000000007854: 0B19182F
	v_mul_f32_e32 v141, s47, v141                              // 000000007858: 0B1B1A2F
	v_mul_f32_e32 v142, s47, v142                              // 00000000785C: 0B1D1C2F
	v_mul_f32_e32 v143, s47, v143                              // 000000007860: 0B1F1E2F
	ds_write_b64 v20, v[132:133] offset:28416                  // 000000007864: D89A6F00 00008414
	ds_write_b64 v20, v[134:135] offset:28928                  // 00000000786C: D89A7100 00008614
	ds_write_b64 v20, v[136:137] offset:29440                  // 000000007874: D89A7300 00008814
	ds_write_b64 v20, v[138:139] offset:29952                  // 00000000787C: D89A7500 00008A14
	ds_write_b64 v20, v[140:141] offset:30464                  // 000000007884: D89A7700 00008C14
	ds_write_b64 v20, v[142:143] offset:30976                  // 00000000788C: D89A7900 00008E14
	s_waitcnt lgkmcnt(0)                                       // 000000007894: BF8CC07F
	s_barrier                                                  // 000000007898: BF8A0000
	ds_read_b64 v[144:145], v19 offset:28416                   // 00000000789C: D8EC6F00 90000013
	ds_read_b64 v[146:147], v19 offset:30464                   // 0000000078A4: D8EC7700 92000013
	ds_read_b64 v[148:149], v19 offset:32512                   // 0000000078AC: D8EC7F00 94000013
	ds_read_b64 v[150:151], v19 offset:34560                   // 0000000078B4: D8EC8700 96000013
	ds_read_b64 v[152:153], v19 offset:36608                   // 0000000078BC: D8EC8F00 98000013
	ds_read_b64 v[154:155], v19 offset:38656                   // 0000000078C4: D8EC9700 9A000013
	s_waitcnt lgkmcnt(0)                                       // 0000000078CC: BF8CC07F
	s_barrier                                                  // 0000000078D0: BF8A0000
	buffer_atomic_add_f32 v144, v7, s[32:35], 0 offen          // 0000000078D4: E1341000 80089007
	buffer_atomic_add_f32 v145, v8, s[32:35], 0 offen          // 0000000078DC: E1341000 80089108
	buffer_atomic_add_f32 v146, v7, s[32:35], 0 offen offset:128// 0000000078E4: E1341080 80089207
	buffer_atomic_add_f32 v147, v8, s[32:35], 0 offen offset:128// 0000000078EC: E1341080 80089308
	buffer_atomic_add_f32 v148, v7, s[32:35], 0 offen offset:256// 0000000078F4: E1341100 80089407
	buffer_atomic_add_f32 v149, v8, s[32:35], 0 offen offset:256// 0000000078FC: E1341100 80089508
	buffer_atomic_add_f32 v150, v7, s[32:35], 0 offen offset:384// 000000007904: E1341180 80089607
	buffer_atomic_add_f32 v151, v8, s[32:35], 0 offen offset:384// 00000000790C: E1341180 80089708
	s_mov_b64 exec, s[82:83]                                   // 000000007914: BEFE0152
	buffer_atomic_add_f32 v152, v7, s[32:35], 0 offen offset:512// 000000007918: E1341200 80089807
	s_mov_b32 exec_lo, -1                                      // 000000007920: BEFE00C1
	s_mov_b32 exec_hi, -1                                      // 000000007924: BEFF00C1
	s_mov_b64 exec, s[82:83]                                   // 000000007928: BEFE0152
	buffer_atomic_add_f32 v153, v8, s[32:35], 0 offen offset:512// 00000000792C: E1341200 80089908
	s_mov_b32 exec_lo, -1                                      // 000000007934: BEFE00C1
	s_mov_b32 exec_hi, -1                                      // 000000007938: BEFF00C1
	s_mov_b64 exec, s[92:93]                                   // 00000000793C: BEFE015C
	buffer_atomic_add_f32 v154, v7, s[32:35], 0 offen offset:640// 000000007940: E1341280 80089A07
	s_mov_b32 exec_lo, -1                                      // 000000007948: BEFE00C1
	s_mov_b32 exec_hi, -1                                      // 00000000794C: BEFF00C1
	s_mov_b64 exec, s[92:93]                                   // 000000007950: BEFE015C
	buffer_atomic_add_f32 v155, v8, s[32:35], 0 offen offset:640// 000000007954: E1341280 80089B08
	s_mov_b32 exec_lo, -1                                      // 00000000795C: BEFE00C1
	s_mov_b32 exec_hi, -1                                      // 000000007960: BEFF00C1
	v_lshrrev_b32_e32 v28, 3, v0                               // 000000007964: 20380083
	v_mul_i32_i24_e32 v24, 2, v28                              // 000000007968: 0C303882
	v_and_b32_e32 v28, 7, v0                                   // 00000000796C: 26380087
	v_mul_i32_i24_e32 v29, 0x44, v28                           // 000000007970: 0C3A38FF 00000044
	v_add_u32_e32 v24, v29, v24                                // 000000007978: 6830311D
	s_mul_i32 s60, s46, 0x660                                  // 00000000797C: 923CFF2E 00000660
	v_add_u32_e32 v24, s60, v24                                // 000000007984: 6830303C
	v_lshlrev_b32_e32 v24, 2, v24                              // 000000007988: 24303082
	v_and_b32_e32 v28, 7, v0                                   // 00000000798C: 26380087
	v_mov_b32_e32 v29, s50                                     // 000000007990: 7E3A0232
	v_mov_b32_e32 v30, 0x80                                    // 000000007994: 7E3C02FF 00000080
	v_sub_u32_e32 v29, v29, v30                                // 00000000799C: 6A3A3D1D
	v_lshrrev_b32_e32 v29, 3, v29                              // 0000000079A0: 203A3A83
	v_cmp_lt_u32_e64 s[80:81], v28, v29                        // 0000000079A4: D0C90050 00023B1C
	v_accvgpr_read_b32 v28, a96                                // 0000000079AC: D3D8401C 18000160
	v_accvgpr_read_b32 v29, a97                                // 0000000079B4: D3D8401D 18000161
	v_mul_f32_e32 v28, s47, v28                                // 0000000079BC: 0A38382F
	v_mul_f32_e32 v29, s47, v29                                // 0000000079C0: 0A3A3A2F
	v_cvt_pkrtz_f16_f32 v56, v28, v29                          // 0000000079C4: D2960038 00023B1C
	v_accvgpr_read_b32 v28, a98                                // 0000000079CC: D3D8401C 18000162
	v_accvgpr_read_b32 v29, a99                                // 0000000079D4: D3D8401D 18000163
	v_mul_f32_e32 v28, s47, v28                                // 0000000079DC: 0A38382F
	v_mul_f32_e32 v29, s47, v29                                // 0000000079E0: 0A3A3A2F
	v_cvt_pkrtz_f16_f32 v57, v28, v29                          // 0000000079E4: D2960039 00023B1C
	v_accvgpr_read_b32 v28, a100                               // 0000000079EC: D3D8401C 18000164
	v_accvgpr_read_b32 v29, a101                               // 0000000079F4: D3D8401D 18000165
	v_mul_f32_e32 v28, s47, v28                                // 0000000079FC: 0A38382F
	v_mul_f32_e32 v29, s47, v29                                // 000000007A00: 0A3A3A2F
	v_cvt_pkrtz_f16_f32 v58, v28, v29                          // 000000007A04: D296003A 00023B1C
	v_accvgpr_read_b32 v28, a102                               // 000000007A0C: D3D8401C 18000166
	v_accvgpr_read_b32 v29, a103                               // 000000007A14: D3D8401D 18000167
	v_mul_f32_e32 v28, s47, v28                                // 000000007A1C: 0A38382F
	v_mul_f32_e32 v29, s47, v29                                // 000000007A20: 0A3A3A2F
	v_cvt_pkrtz_f16_f32 v59, v28, v29                          // 000000007A24: D296003B 00023B1C
	v_accvgpr_read_b32 v28, a104                               // 000000007A2C: D3D8401C 18000168
	v_accvgpr_read_b32 v29, a105                               // 000000007A34: D3D8401D 18000169
	v_mul_f32_e32 v28, s47, v28                                // 000000007A3C: 0A38382F
	v_mul_f32_e32 v29, s47, v29                                // 000000007A40: 0A3A3A2F
	v_cvt_pkrtz_f16_f32 v60, v28, v29                          // 000000007A44: D296003C 00023B1C
	v_accvgpr_read_b32 v28, a106                               // 000000007A4C: D3D8401C 1800016A
	v_accvgpr_read_b32 v29, a107                               // 000000007A54: D3D8401D 1800016B
	v_mul_f32_e32 v28, s47, v28                                // 000000007A5C: 0A38382F
	v_mul_f32_e32 v29, s47, v29                                // 000000007A60: 0A3A3A2F
	v_cvt_pkrtz_f16_f32 v61, v28, v29                          // 000000007A64: D296003D 00023B1C
	v_accvgpr_read_b32 v28, a108                               // 000000007A6C: D3D8401C 1800016C
	v_accvgpr_read_b32 v29, a109                               // 000000007A74: D3D8401D 1800016D
	v_mul_f32_e32 v28, s47, v28                                // 000000007A7C: 0A38382F
	v_mul_f32_e32 v29, s47, v29                                // 000000007A80: 0A3A3A2F
	v_cvt_pkrtz_f16_f32 v62, v28, v29                          // 000000007A84: D296003E 00023B1C
	v_accvgpr_read_b32 v28, a110                               // 000000007A8C: D3D8401C 1800016E
	v_accvgpr_read_b32 v29, a111                               // 000000007A94: D3D8401D 1800016F
	v_mul_f32_e32 v28, s47, v28                                // 000000007A9C: 0A38382F
	v_mul_f32_e32 v29, s47, v29                                // 000000007AA0: 0A3A3A2F
	v_cvt_pkrtz_f16_f32 v63, v28, v29                          // 000000007AA4: D296003F 00023B1C
	v_accvgpr_read_b32 v28, a112                               // 000000007AAC: D3D8401C 18000170
	v_accvgpr_read_b32 v29, a113                               // 000000007AB4: D3D8401D 18000171
	v_mul_f32_e32 v28, s47, v28                                // 000000007ABC: 0A38382F
	v_mul_f32_e32 v29, s47, v29                                // 000000007AC0: 0A3A3A2F
	v_cvt_pkrtz_f16_f32 v64, v28, v29                          // 000000007AC4: D2960040 00023B1C
	v_accvgpr_read_b32 v28, a114                               // 000000007ACC: D3D8401C 18000172
	v_accvgpr_read_b32 v29, a115                               // 000000007AD4: D3D8401D 18000173
	v_mul_f32_e32 v28, s47, v28                                // 000000007ADC: 0A38382F
	v_mul_f32_e32 v29, s47, v29                                // 000000007AE0: 0A3A3A2F
	v_cvt_pkrtz_f16_f32 v65, v28, v29                          // 000000007AE4: D2960041 00023B1C
	v_accvgpr_read_b32 v28, a116                               // 000000007AEC: D3D8401C 18000174
	v_accvgpr_read_b32 v29, a117                               // 000000007AF4: D3D8401D 18000175
	v_mul_f32_e32 v28, s47, v28                                // 000000007AFC: 0A38382F
	v_mul_f32_e32 v29, s47, v29                                // 000000007B00: 0A3A3A2F
	v_cvt_pkrtz_f16_f32 v66, v28, v29                          // 000000007B04: D2960042 00023B1C
	v_accvgpr_read_b32 v28, a118                               // 000000007B0C: D3D8401C 18000176
	v_accvgpr_read_b32 v29, a119                               // 000000007B14: D3D8401D 18000177
	v_mul_f32_e32 v28, s47, v28                                // 000000007B1C: 0A38382F
	v_mul_f32_e32 v29, s47, v29                                // 000000007B20: 0A3A3A2F
	v_cvt_pkrtz_f16_f32 v67, v28, v29                          // 000000007B24: D2960043 00023B1C
	v_accvgpr_read_b32 v28, a120                               // 000000007B2C: D3D8401C 18000178
	v_accvgpr_read_b32 v29, a121                               // 000000007B34: D3D8401D 18000179
	v_mul_f32_e32 v28, s47, v28                                // 000000007B3C: 0A38382F
	v_mul_f32_e32 v29, s47, v29                                // 000000007B40: 0A3A3A2F
	v_cvt_pkrtz_f16_f32 v68, v28, v29                          // 000000007B44: D2960044 00023B1C
	v_accvgpr_read_b32 v28, a122                               // 000000007B4C: D3D8401C 1800017A
	v_accvgpr_read_b32 v29, a123                               // 000000007B54: D3D8401D 1800017B
	v_mul_f32_e32 v28, s47, v28                                // 000000007B5C: 0A38382F
	v_mul_f32_e32 v29, s47, v29                                // 000000007B60: 0A3A3A2F
	v_cvt_pkrtz_f16_f32 v69, v28, v29                          // 000000007B64: D2960045 00023B1C
	v_accvgpr_read_b32 v28, a124                               // 000000007B6C: D3D8401C 1800017C
	v_accvgpr_read_b32 v29, a125                               // 000000007B74: D3D8401D 1800017D
	v_mul_f32_e32 v28, s47, v28                                // 000000007B7C: 0A38382F
	v_mul_f32_e32 v29, s47, v29                                // 000000007B80: 0A3A3A2F
	v_cvt_pkrtz_f16_f32 v70, v28, v29                          // 000000007B84: D2960046 00023B1C
	v_accvgpr_read_b32 v28, a126                               // 000000007B8C: D3D8401C 1800017E
	v_accvgpr_read_b32 v29, a127                               // 000000007B94: D3D8401D 1800017F
	v_mul_f32_e32 v28, s47, v28                                // 000000007B9C: 0A38382F
	v_mul_f32_e32 v29, s47, v29                                // 000000007BA0: 0A3A3A2F
	v_cvt_pkrtz_f16_f32 v71, v28, v29                          // 000000007BA4: D2960047 00023B1C
	v_accvgpr_read_b32 v28, a128                               // 000000007BAC: D3D8401C 18000180
	v_accvgpr_read_b32 v29, a129                               // 000000007BB4: D3D8401D 18000181
	v_mul_f32_e32 v28, s47, v28                                // 000000007BBC: 0A38382F
	v_mul_f32_e32 v29, s47, v29                                // 000000007BC0: 0A3A3A2F
	v_cvt_pkrtz_f16_f32 v72, v28, v29                          // 000000007BC4: D2960048 00023B1C
	v_accvgpr_read_b32 v28, a130                               // 000000007BCC: D3D8401C 18000182
	v_accvgpr_read_b32 v29, a131                               // 000000007BD4: D3D8401D 18000183
	v_mul_f32_e32 v28, s47, v28                                // 000000007BDC: 0A38382F
	v_mul_f32_e32 v29, s47, v29                                // 000000007BE0: 0A3A3A2F
	v_cvt_pkrtz_f16_f32 v73, v28, v29                          // 000000007BE4: D2960049 00023B1C
	v_accvgpr_read_b32 v28, a132                               // 000000007BEC: D3D8401C 18000184
	v_accvgpr_read_b32 v29, a133                               // 000000007BF4: D3D8401D 18000185
	v_mul_f32_e32 v28, s47, v28                                // 000000007BFC: 0A38382F
	v_mul_f32_e32 v29, s47, v29                                // 000000007C00: 0A3A3A2F
	v_cvt_pkrtz_f16_f32 v74, v28, v29                          // 000000007C04: D296004A 00023B1C
	v_accvgpr_read_b32 v28, a134                               // 000000007C0C: D3D8401C 18000186
	v_accvgpr_read_b32 v29, a135                               // 000000007C14: D3D8401D 18000187
	v_mul_f32_e32 v28, s47, v28                                // 000000007C1C: 0A38382F
	v_mul_f32_e32 v29, s47, v29                                // 000000007C20: 0A3A3A2F
	v_cvt_pkrtz_f16_f32 v75, v28, v29                          // 000000007C24: D296004B 00023B1C
	v_accvgpr_read_b32 v28, a136                               // 000000007C2C: D3D8401C 18000188
	v_accvgpr_read_b32 v29, a137                               // 000000007C34: D3D8401D 18000189
	v_mul_f32_e32 v28, s47, v28                                // 000000007C3C: 0A38382F
	v_mul_f32_e32 v29, s47, v29                                // 000000007C40: 0A3A3A2F
	v_cvt_pkrtz_f16_f32 v76, v28, v29                          // 000000007C44: D296004C 00023B1C
	v_accvgpr_read_b32 v28, a138                               // 000000007C4C: D3D8401C 1800018A
	v_accvgpr_read_b32 v29, a139                               // 000000007C54: D3D8401D 1800018B
	v_mul_f32_e32 v28, s47, v28                                // 000000007C5C: 0A38382F
	v_mul_f32_e32 v29, s47, v29                                // 000000007C60: 0A3A3A2F
	v_cvt_pkrtz_f16_f32 v77, v28, v29                          // 000000007C64: D296004D 00023B1C
	v_accvgpr_read_b32 v28, a140                               // 000000007C6C: D3D8401C 1800018C
	v_accvgpr_read_b32 v29, a141                               // 000000007C74: D3D8401D 1800018D
	v_mul_f32_e32 v28, s47, v28                                // 000000007C7C: 0A38382F
	v_mul_f32_e32 v29, s47, v29                                // 000000007C80: 0A3A3A2F
	v_cvt_pkrtz_f16_f32 v78, v28, v29                          // 000000007C84: D296004E 00023B1C
	v_accvgpr_read_b32 v28, a142                               // 000000007C8C: D3D8401C 1800018E
	v_accvgpr_read_b32 v29, a143                               // 000000007C94: D3D8401D 1800018F
	v_mul_f32_e32 v28, s47, v28                                // 000000007C9C: 0A38382F
	v_mul_f32_e32 v29, s47, v29                                // 000000007CA0: 0A3A3A2F
	v_cvt_pkrtz_f16_f32 v79, v28, v29                          // 000000007CA4: D296004F 00023B1C
	ds_write_b64 v25, v[56:57]                                 // 000000007CAC: D89A0000 00003819
	ds_write_b64 v25, v[58:59] offset:544                      // 000000007CB4: D89A0220 00003A19
	ds_write_b64 v25, v[60:61] offset:1088                     // 000000007CBC: D89A0440 00003C19
	ds_write_b64 v25, v[62:63] offset:1632                     // 000000007CC4: D89A0660 00003E19
	ds_write_b64 v25, v[64:65] offset:2176                     // 000000007CCC: D89A0880 00004019
	ds_write_b64 v25, v[66:67] offset:2720                     // 000000007CD4: D89A0AA0 00004219
	ds_write_b64 v25, v[68:69] offset:3264                     // 000000007CDC: D89A0CC0 00004419
	ds_write_b64 v25, v[70:71] offset:3808                     // 000000007CE4: D89A0EE0 00004619
	ds_write_b64 v25, v[72:73] offset:4352                     // 000000007CEC: D89A1100 00004819
	ds_write_b64 v25, v[74:75] offset:4896                     // 000000007CF4: D89A1320 00004A19
	ds_write_b64 v25, v[76:77] offset:5440                     // 000000007CFC: D89A1540 00004C19
	ds_write_b64 v25, v[78:79] offset:5984                     // 000000007D04: D89A1760 00004E19
	s_waitcnt lgkmcnt(0)                                       // 000000007D0C: BF8CC07F
	s_barrier                                                  // 000000007D10: BF8A0000
	ds_read_b64 v[56:57], v24                                  // 000000007D14: D8EC0000 38000018
	ds_read_b64 v[58:59], v24 offset:128                       // 000000007D1C: D8EC0080 3A000018
	ds_read_b64 v[60:61], v24 offset:64                        // 000000007D24: D8EC0040 3C000018
	ds_read_b64 v[62:63], v24 offset:192                       // 000000007D2C: D8EC00C0 3E000018
	ds_read_b64 v[64:65], v24 offset:2176                      // 000000007D34: D8EC0880 40000018
	ds_read_b64 v[66:67], v24 offset:2304                      // 000000007D3C: D8EC0900 42000018
	ds_read_b64 v[68:69], v24 offset:2240                      // 000000007D44: D8EC08C0 44000018
	ds_read_b64 v[70:71], v24 offset:2368                      // 000000007D4C: D8EC0940 46000018
	ds_read_b64 v[72:73], v24 offset:4352                      // 000000007D54: D8EC1100 48000018
	ds_read_b64 v[74:75], v24 offset:4480                      // 000000007D5C: D8EC1180 4A000018
	ds_read_b64 v[76:77], v24 offset:4416                      // 000000007D64: D8EC1140 4C000018
	ds_read_b64 v[78:79], v24 offset:4544                      // 000000007D6C: D8EC11C0 4E000018
	s_waitcnt lgkmcnt(0)                                       // 000000007D74: BF8CC07F
	buffer_store_dwordx4 v[56:59], v3, s[36:39], 0 idxen       // 000000007D78: E07C2000 80093803
	v_add_u32_e32 v3, 32, v3                                   // 000000007D80: 680606A0
	buffer_store_dwordx4 v[60:63], v4, s[36:39], 0 idxen       // 000000007D84: E07C2000 80093C04
	v_add_u32_e32 v4, 32, v4                                   // 000000007D8C: 680808A0
	buffer_store_dwordx4 v[64:67], v3, s[36:39], 0 idxen       // 000000007D90: E07C2000 80094003
	v_add_u32_e32 v3, 32, v3                                   // 000000007D98: 680606A0
	buffer_store_dwordx4 v[68:71], v4, s[36:39], 0 idxen       // 000000007D9C: E07C2000 80094404
	v_add_u32_e32 v4, 32, v4                                   // 000000007DA4: 680808A0
	s_mov_b64 exec, s[80:81]                                   // 000000007DA8: BEFE0150
	buffer_store_dwordx4 v[72:75], v3, s[36:39], 0 idxen       // 000000007DAC: E07C2000 80094803
	s_mov_b32 exec_lo, -1                                      // 000000007DB4: BEFE00C1
	s_mov_b32 exec_hi, -1                                      // 000000007DB8: BEFF00C1
	v_add_u32_e32 v3, 32, v3                                   // 000000007DBC: 680606A0
	s_mov_b64 exec, s[80:81]                                   // 000000007DC0: BEFE0150
	buffer_store_dwordx4 v[76:79], v4, s[36:39], 0 idxen       // 000000007DC4: E07C2000 80094C04
	s_mov_b32 exec_lo, -1                                      // 000000007DCC: BEFE00C1
	s_mov_b32 exec_hi, -1                                      // 000000007DD0: BEFF00C1
	v_add_u32_e32 v4, 32, v4                                   // 000000007DD4: 680808A0
	s_barrier                                                  // 000000007DD8: BF8A0000
	v_mov_b32_e32 v28, v160                                    // 000000007DDC: 7E3803A0
	v_mov_b32_e32 v29, v161                                    // 000000007DE0: 7E3A03A1
	v_cvt_pkrtz_f16_f32 v160, v28, v29                         // 000000007DE4: D29600A0 00023B1C
	v_mov_b32_e32 v28, v162                                    // 000000007DEC: 7E3803A2
	v_mov_b32_e32 v29, v163                                    // 000000007DF0: 7E3A03A3
	v_cvt_pkrtz_f16_f32 v161, v28, v29                         // 000000007DF4: D29600A1 00023B1C
	v_mov_b32_e32 v28, v164                                    // 000000007DFC: 7E3803A4
	v_mov_b32_e32 v29, v165                                    // 000000007E00: 7E3A03A5
	v_cvt_pkrtz_f16_f32 v162, v28, v29                         // 000000007E04: D29600A2 00023B1C
	v_mov_b32_e32 v28, v166                                    // 000000007E0C: 7E3803A6
	v_mov_b32_e32 v29, v167                                    // 000000007E10: 7E3A03A7
	v_cvt_pkrtz_f16_f32 v163, v28, v29                         // 000000007E14: D29600A3 00023B1C
	v_mov_b32_e32 v28, v168                                    // 000000007E1C: 7E3803A8
	v_mov_b32_e32 v29, v169                                    // 000000007E20: 7E3A03A9
	v_cvt_pkrtz_f16_f32 v164, v28, v29                         // 000000007E24: D29600A4 00023B1C
	v_mov_b32_e32 v28, v170                                    // 000000007E2C: 7E3803AA
	v_mov_b32_e32 v29, v171                                    // 000000007E30: 7E3A03AB
	v_cvt_pkrtz_f16_f32 v165, v28, v29                         // 000000007E34: D29600A5 00023B1C
	v_mov_b32_e32 v28, v172                                    // 000000007E3C: 7E3803AC
	v_mov_b32_e32 v29, v173                                    // 000000007E40: 7E3A03AD
	v_cvt_pkrtz_f16_f32 v166, v28, v29                         // 000000007E44: D29600A6 00023B1C
	v_mov_b32_e32 v28, v174                                    // 000000007E4C: 7E3803AE
	v_mov_b32_e32 v29, v175                                    // 000000007E50: 7E3A03AF
	v_cvt_pkrtz_f16_f32 v167, v28, v29                         // 000000007E54: D29600A7 00023B1C
	v_mov_b32_e32 v28, v176                                    // 000000007E5C: 7E3803B0
	v_mov_b32_e32 v29, v177                                    // 000000007E60: 7E3A03B1
	v_cvt_pkrtz_f16_f32 v168, v28, v29                         // 000000007E64: D29600A8 00023B1C
	v_mov_b32_e32 v28, v178                                    // 000000007E6C: 7E3803B2
	v_mov_b32_e32 v29, v179                                    // 000000007E70: 7E3A03B3
	v_cvt_pkrtz_f16_f32 v169, v28, v29                         // 000000007E74: D29600A9 00023B1C
	v_mov_b32_e32 v28, v180                                    // 000000007E7C: 7E3803B4
	v_mov_b32_e32 v29, v181                                    // 000000007E80: 7E3A03B5
	v_cvt_pkrtz_f16_f32 v170, v28, v29                         // 000000007E84: D29600AA 00023B1C
	v_mov_b32_e32 v28, v182                                    // 000000007E8C: 7E3803B6
	v_mov_b32_e32 v29, v183                                    // 000000007E90: 7E3A03B7
	v_cvt_pkrtz_f16_f32 v171, v28, v29                         // 000000007E94: D29600AB 00023B1C
	v_mov_b32_e32 v28, v184                                    // 000000007E9C: 7E3803B8
	v_mov_b32_e32 v29, v185                                    // 000000007EA0: 7E3A03B9
	v_cvt_pkrtz_f16_f32 v172, v28, v29                         // 000000007EA4: D29600AC 00023B1C
	v_mov_b32_e32 v28, v186                                    // 000000007EAC: 7E3803BA
	v_mov_b32_e32 v29, v187                                    // 000000007EB0: 7E3A03BB
	v_cvt_pkrtz_f16_f32 v173, v28, v29                         // 000000007EB4: D29600AD 00023B1C
	v_mov_b32_e32 v28, v188                                    // 000000007EBC: 7E3803BC
	v_mov_b32_e32 v29, v189                                    // 000000007EC0: 7E3A03BD
	v_cvt_pkrtz_f16_f32 v174, v28, v29                         // 000000007EC4: D29600AE 00023B1C
	v_mov_b32_e32 v28, v190                                    // 000000007ECC: 7E3803BE
	v_mov_b32_e32 v29, v191                                    // 000000007ED0: 7E3A03BF
	v_cvt_pkrtz_f16_f32 v175, v28, v29                         // 000000007ED4: D29600AF 00023B1C
	v_mov_b32_e32 v28, v192                                    // 000000007EDC: 7E3803C0
	v_mov_b32_e32 v29, v193                                    // 000000007EE0: 7E3A03C1
	v_cvt_pkrtz_f16_f32 v176, v28, v29                         // 000000007EE4: D29600B0 00023B1C
	v_mov_b32_e32 v28, v194                                    // 000000007EEC: 7E3803C2
	v_mov_b32_e32 v29, v195                                    // 000000007EF0: 7E3A03C3
	v_cvt_pkrtz_f16_f32 v177, v28, v29                         // 000000007EF4: D29600B1 00023B1C
	v_mov_b32_e32 v28, v196                                    // 000000007EFC: 7E3803C4
	v_mov_b32_e32 v29, v197                                    // 000000007F00: 7E3A03C5
	v_cvt_pkrtz_f16_f32 v178, v28, v29                         // 000000007F04: D29600B2 00023B1C
	v_mov_b32_e32 v28, v198                                    // 000000007F0C: 7E3803C6
	v_mov_b32_e32 v29, v199                                    // 000000007F10: 7E3A03C7
	v_cvt_pkrtz_f16_f32 v179, v28, v29                         // 000000007F14: D29600B3 00023B1C
	v_mov_b32_e32 v28, v200                                    // 000000007F1C: 7E3803C8
	v_mov_b32_e32 v29, v201                                    // 000000007F20: 7E3A03C9
	v_cvt_pkrtz_f16_f32 v180, v28, v29                         // 000000007F24: D29600B4 00023B1C
	v_mov_b32_e32 v28, v202                                    // 000000007F2C: 7E3803CA
	v_mov_b32_e32 v29, v203                                    // 000000007F30: 7E3A03CB
	v_cvt_pkrtz_f16_f32 v181, v28, v29                         // 000000007F34: D29600B5 00023B1C
	v_mov_b32_e32 v28, v204                                    // 000000007F3C: 7E3803CC
	v_mov_b32_e32 v29, v205                                    // 000000007F40: 7E3A03CD
	v_cvt_pkrtz_f16_f32 v182, v28, v29                         // 000000007F44: D29600B6 00023B1C
	v_mov_b32_e32 v28, v206                                    // 000000007F4C: 7E3803CE
	v_mov_b32_e32 v29, v207                                    // 000000007F50: 7E3A03CF
	v_cvt_pkrtz_f16_f32 v183, v28, v29                         // 000000007F54: D29600B7 00023B1C
	ds_write_b64 v25, v[160:161]                               // 000000007F5C: D89A0000 0000A019
	ds_write_b64 v25, v[162:163] offset:544                    // 000000007F64: D89A0220 0000A219
	ds_write_b64 v25, v[164:165] offset:1088                   // 000000007F6C: D89A0440 0000A419
	ds_write_b64 v25, v[166:167] offset:1632                   // 000000007F74: D89A0660 0000A619
	ds_write_b64 v25, v[168:169] offset:2176                   // 000000007F7C: D89A0880 0000A819
	ds_write_b64 v25, v[170:171] offset:2720                   // 000000007F84: D89A0AA0 0000AA19
	ds_write_b64 v25, v[172:173] offset:3264                   // 000000007F8C: D89A0CC0 0000AC19
	ds_write_b64 v25, v[174:175] offset:3808                   // 000000007F94: D89A0EE0 0000AE19
	ds_write_b64 v25, v[176:177] offset:4352                   // 000000007F9C: D89A1100 0000B019
	ds_write_b64 v25, v[178:179] offset:4896                   // 000000007FA4: D89A1320 0000B219
	ds_write_b64 v25, v[180:181] offset:5440                   // 000000007FAC: D89A1540 0000B419
	ds_write_b64 v25, v[182:183] offset:5984                   // 000000007FB4: D89A1760 0000B619
	s_waitcnt lgkmcnt(0)                                       // 000000007FBC: BF8CC07F
	s_barrier                                                  // 000000007FC0: BF8A0000
	ds_read_b64 v[160:161], v24                                // 000000007FC4: D8EC0000 A0000018
	ds_read_b64 v[162:163], v24 offset:128                     // 000000007FCC: D8EC0080 A2000018
	ds_read_b64 v[164:165], v24 offset:64                      // 000000007FD4: D8EC0040 A4000018
	ds_read_b64 v[166:167], v24 offset:192                     // 000000007FDC: D8EC00C0 A6000018
	ds_read_b64 v[168:169], v24 offset:2176                    // 000000007FE4: D8EC0880 A8000018
	ds_read_b64 v[170:171], v24 offset:2304                    // 000000007FEC: D8EC0900 AA000018
	ds_read_b64 v[172:173], v24 offset:2240                    // 000000007FF4: D8EC08C0 AC000018
	ds_read_b64 v[174:175], v24 offset:2368                    // 000000007FFC: D8EC0940 AE000018
	ds_read_b64 v[176:177], v24 offset:4352                    // 000000008004: D8EC1100 B0000018
	ds_read_b64 v[178:179], v24 offset:4480                    // 00000000800C: D8EC1180 B2000018
	ds_read_b64 v[180:181], v24 offset:4416                    // 000000008014: D8EC1140 B4000018
	ds_read_b64 v[182:183], v24 offset:4544                    // 00000000801C: D8EC11C0 B6000018
	s_waitcnt lgkmcnt(0)                                       // 000000008024: BF8CC07F
	buffer_store_dwordx4 v[160:163], v5, s[40:43], 0 idxen     // 000000008028: E07C2000 800AA005
	v_add_u32_e32 v5, 32, v5                                   // 000000008030: 680A0AA0
	buffer_store_dwordx4 v[164:167], v6, s[40:43], 0 idxen     // 000000008034: E07C2000 800AA406
	v_add_u32_e32 v6, 32, v6                                   // 00000000803C: 680C0CA0
	buffer_store_dwordx4 v[168:171], v5, s[40:43], 0 idxen     // 000000008040: E07C2000 800AA805
	v_add_u32_e32 v5, 32, v5                                   // 000000008048: 680A0AA0
	buffer_store_dwordx4 v[172:175], v6, s[40:43], 0 idxen     // 00000000804C: E07C2000 800AAC06
	v_add_u32_e32 v6, 32, v6                                   // 000000008054: 680C0CA0
	s_mov_b64 exec, s[80:81]                                   // 000000008058: BEFE0150
	buffer_store_dwordx4 v[176:179], v5, s[40:43], 0 idxen     // 00000000805C: E07C2000 800AB005
	s_mov_b32 exec_lo, -1                                      // 000000008064: BEFE00C1
	s_mov_b32 exec_hi, -1                                      // 000000008068: BEFF00C1
	v_add_u32_e32 v5, 32, v5                                   // 00000000806C: 680A0AA0
	s_mov_b64 exec, s[80:81]                                   // 000000008070: BEFE0150
	buffer_store_dwordx4 v[180:183], v6, s[40:43], 0 idxen     // 000000008074: E07C2000 800AB406
	s_mov_b32 exec_lo, -1                                      // 00000000807C: BEFE00C1
	s_mov_b32 exec_hi, -1                                      // 000000008080: BEFF00C1
	v_add_u32_e32 v6, 32, v6                                   // 000000008084: 680C0CA0
	s_waitcnt vmcnt(0) expcnt(0) lgkmcnt(0)                    // 000000008088: BF8C0000
	s_sub_i32 s60, s77, 1                                      // 00000000808C: 81BC814D
	s_sub_i32 s2, s60, s2                                      // 000000008090: 8182023C
	s_addk_i32 s75, 0x1                                        // 000000008094: B74B0001
	s_cmp_lt_i32 s75, s76                                      // 000000008098: BF044C4B
	s_cbranch_scc1 label_015B                                  // 00000000809C: BF85F133

00000000000080a0 <label_1028>:
	s_waitcnt vmcnt(0) expcnt(0) lgkmcnt(0)                    // 0000000080A0: BF8C0000
	s_endpgm                                                   // 0000000080A4: BF810000
